;; amdgpu-corpus repo=ROCm/rocFFT kind=compiled arch=gfx906 opt=O3
	.text
	.amdgcn_target "amdgcn-amd-amdhsa--gfx906"
	.amdhsa_code_object_version 6
	.protected	bluestein_single_back_len770_dim1_half_op_CI_CI ; -- Begin function bluestein_single_back_len770_dim1_half_op_CI_CI
	.globl	bluestein_single_back_len770_dim1_half_op_CI_CI
	.p2align	8
	.type	bluestein_single_back_len770_dim1_half_op_CI_CI,@function
bluestein_single_back_len770_dim1_half_op_CI_CI: ; @bluestein_single_back_len770_dim1_half_op_CI_CI
; %bb.0:
	s_load_dwordx4 s[0:3], s[4:5], 0x28
	v_mul_u32_u24_e32 v1, 0x254, v0
	v_lshrrev_b32_e32 v1, 16, v1
	v_lshl_add_u32 v12, s6, 1, v1
	v_mov_b32_e32 v13, 0
	s_waitcnt lgkmcnt(0)
	v_cmp_gt_u64_e32 vcc, s[0:1], v[12:13]
	s_and_saveexec_b64 s[0:1], vcc
	s_cbranch_execz .LBB0_23
; %bb.1:
	s_load_dwordx2 s[6:7], s[4:5], 0x0
	s_load_dwordx2 s[12:13], s[4:5], 0x38
	v_mul_lo_u16_e32 v2, 0x6e, v1
	v_sub_u16_e32 v28, v0, v2
	v_and_b32_e32 v0, 1, v1
	v_mov_b32_e32 v1, 0x302
	v_cmp_eq_u32_e32 vcc, 1, v0
	v_cndmask_b32_e32 v19, 0, v1, vcc
	s_movk_i32 s0, 0x46
	v_cmp_gt_u16_e32 vcc, s0, v28
	v_lshlrev_b32_e32 v27, 2, v28
	v_lshlrev_b32_e32 v30, 2, v19
	s_and_saveexec_b64 s[8:9], vcc
	s_cbranch_execz .LBB0_3
; %bb.2:
	s_load_dwordx2 s[0:1], s[4:5], 0x18
	s_waitcnt lgkmcnt(0)
	s_load_dwordx4 s[16:19], s[0:1], 0x0
	s_waitcnt lgkmcnt(0)
	v_mad_u64_u32 v[0:1], s[0:1], s18, v12, 0
	v_mad_u64_u32 v[2:3], s[0:1], s16, v28, 0
	v_mad_u64_u32 v[4:5], s[0:1], s19, v12, v[1:2]
	v_mad_u64_u32 v[5:6], s[0:1], s17, v28, v[3:4]
	v_mov_b32_e32 v1, v4
	v_lshlrev_b64 v[0:1], 2, v[0:1]
	v_mov_b32_e32 v3, v5
	v_mov_b32_e32 v6, s3
	v_lshlrev_b64 v[2:3], 2, v[2:3]
	v_add_co_u32_e64 v0, s[0:1], s2, v0
	v_addc_co_u32_e64 v1, s[0:1], v6, v1, s[0:1]
	v_add_co_u32_e64 v0, s[0:1], v0, v2
	v_addc_co_u32_e64 v1, s[0:1], v1, v3, s[0:1]
	s_mul_i32 s0, s17, 0x118
	s_mul_hi_u32 s1, s16, 0x118
	s_add_i32 s2, s1, s0
	s_mul_i32 s3, s16, 0x118
	global_load_dword v2, v[0:1], off
	global_load_dword v3, v27, s[6:7]
	v_mov_b32_e32 v4, s2
	v_add_co_u32_e64 v0, s[0:1], s3, v0
	v_addc_co_u32_e64 v1, s[0:1], v1, v4, s[0:1]
	global_load_dword v4, v[0:1], off
	global_load_dword v5, v27, s[6:7] offset:280
	v_mov_b32_e32 v6, s2
	v_add_co_u32_e64 v0, s[0:1], s3, v0
	v_addc_co_u32_e64 v1, s[0:1], v1, v6, s[0:1]
	global_load_dword v6, v[0:1], off
	global_load_dword v7, v27, s[6:7] offset:560
	;; [unrolled: 5-line block ×4, first 2 shown]
	v_mov_b32_e32 v13, s2
	v_add_co_u32_e64 v0, s[0:1], s3, v0
	v_addc_co_u32_e64 v1, s[0:1], v1, v13, s[0:1]
	global_load_dword v13, v27, s[6:7] offset:1400
	global_load_dword v14, v[0:1], off
	v_mov_b32_e32 v15, s2
	v_add_co_u32_e64 v0, s[0:1], s3, v0
	v_addc_co_u32_e64 v1, s[0:1], v1, v15, s[0:1]
	global_load_dword v15, v[0:1], off
	global_load_dword v16, v27, s[6:7] offset:1680
	global_load_dword v17, v27, s[6:7] offset:1960
	v_mov_b32_e32 v18, s2
	v_add_co_u32_e64 v0, s[0:1], s3, v0
	v_addc_co_u32_e64 v1, s[0:1], v1, v18, s[0:1]
	global_load_dword v18, v[0:1], off
	v_mov_b32_e32 v20, s2
	v_add_co_u32_e64 v0, s[0:1], s3, v0
	v_addc_co_u32_e64 v1, s[0:1], v1, v20, s[0:1]
	global_load_dword v20, v[0:1], off
	global_load_dword v21, v27, s[6:7] offset:2240
	v_mov_b32_e32 v22, s2
	v_add_co_u32_e64 v0, s[0:1], s3, v0
	v_addc_co_u32_e64 v1, s[0:1], v1, v22, s[0:1]
	global_load_dword v23, v[0:1], off
	global_load_dword v24, v27, s[6:7] offset:2520
	v_add_co_u32_e64 v0, s[0:1], s3, v0
	v_addc_co_u32_e64 v1, s[0:1], v1, v22, s[0:1]
	global_load_dword v22, v[0:1], off
	global_load_dword v25, v27, s[6:7] offset:2800
	s_waitcnt vmcnt(21)
	v_lshrrev_b32_e32 v0, 16, v2
	s_waitcnt vmcnt(20)
	v_mul_f16_sdwa v1, v3, v2 dst_sel:DWORD dst_unused:UNUSED_PAD src0_sel:WORD_1 src1_sel:DWORD
	v_fma_f16 v1, v3, v0, -v1
	v_mul_f16_sdwa v0, v3, v0 dst_sel:DWORD dst_unused:UNUSED_PAD src0_sel:WORD_1 src1_sel:DWORD
	v_fma_f16 v0, v3, v2, v0
	v_pack_b32_f16 v0, v0, v1
	v_lshl_add_u32 v1, v28, 2, v30
	s_waitcnt vmcnt(19)
	v_lshrrev_b32_e32 v26, 16, v4
	ds_write_b32 v1, v0
	s_waitcnt vmcnt(18)
	v_mul_f16_sdwa v2, v5, v4 dst_sel:DWORD dst_unused:UNUSED_PAD src0_sel:WORD_1 src1_sel:DWORD
	v_mul_f16_sdwa v3, v5, v26 dst_sel:DWORD dst_unused:UNUSED_PAD src0_sel:WORD_1 src1_sel:DWORD
	v_fma_f16 v2, v5, v26, -v2
	s_waitcnt vmcnt(17)
	v_lshrrev_b32_e32 v0, 16, v6
	s_waitcnt vmcnt(16)
	v_mul_f16_sdwa v1, v7, v6 dst_sel:DWORD dst_unused:UNUSED_PAD src0_sel:WORD_1 src1_sel:DWORD
	v_fma_f16 v1, v7, v0, -v1
	v_mul_f16_sdwa v0, v7, v0 dst_sel:DWORD dst_unused:UNUSED_PAD src0_sel:WORD_1 src1_sel:DWORD
	v_fma_f16 v3, v5, v4, v3
	v_fma_f16 v0, v7, v6, v0
	s_waitcnt vmcnt(15)
	v_lshrrev_b32_e32 v4, 16, v8
	s_waitcnt vmcnt(14)
	v_mul_f16_sdwa v5, v9, v8 dst_sel:DWORD dst_unused:UNUSED_PAD src0_sel:WORD_1 src1_sel:DWORD
	v_fma_f16 v5, v9, v4, -v5
	v_mul_f16_sdwa v4, v9, v4 dst_sel:DWORD dst_unused:UNUSED_PAD src0_sel:WORD_1 src1_sel:DWORD
	v_fma_f16 v4, v9, v8, v4
	v_add_u32_e32 v8, v30, v27
	s_waitcnt vmcnt(13)
	v_lshrrev_b32_e32 v6, 16, v10
	s_waitcnt vmcnt(12)
	v_mul_f16_sdwa v7, v11, v10 dst_sel:DWORD dst_unused:UNUSED_PAD src0_sel:WORD_1 src1_sel:DWORD
	v_fma_f16 v7, v11, v6, -v7
	v_mul_f16_sdwa v6, v11, v6 dst_sel:DWORD dst_unused:UNUSED_PAD src0_sel:WORD_1 src1_sel:DWORD
	v_fma_f16 v6, v11, v10, v6
	v_pack_b32_f16 v2, v3, v2
	v_add_u32_e32 v3, 0x200, v8
	v_pack_b32_f16 v0, v0, v1
	v_pack_b32_f16 v1, v4, v5
	;; [unrolled: 1-line block ×3, first 2 shown]
	ds_write2_b32 v3, v1, v4 offset0:82 offset1:152
	ds_write2_b32 v8, v2, v0 offset0:70 offset1:140
	s_waitcnt vmcnt(10)
	v_lshrrev_b32_e32 v0, 16, v14
	v_mul_f16_sdwa v1, v13, v0 dst_sel:DWORD dst_unused:UNUSED_PAD src0_sel:WORD_1 src1_sel:DWORD
	v_mul_f16_sdwa v2, v13, v14 dst_sel:DWORD dst_unused:UNUSED_PAD src0_sel:WORD_1 src1_sel:DWORD
	v_fma_f16 v1, v13, v14, v1
	v_fma_f16 v0, v13, v0, -v2
	v_pack_b32_f16 v0, v1, v0
	s_waitcnt vmcnt(9)
	v_lshrrev_b32_e32 v1, 16, v15
	s_waitcnt vmcnt(8)
	v_mul_f16_sdwa v2, v16, v1 dst_sel:DWORD dst_unused:UNUSED_PAD src0_sel:WORD_1 src1_sel:DWORD
	v_mul_f16_sdwa v3, v16, v15 dst_sel:DWORD dst_unused:UNUSED_PAD src0_sel:WORD_1 src1_sel:DWORD
	v_fma_f16 v2, v16, v15, v2
	v_fma_f16 v1, v16, v1, -v3
	v_pack_b32_f16 v1, v2, v1
	v_add_u32_e32 v2, 0x400, v8
	ds_write2_b32 v2, v0, v1 offset0:94 offset1:164
	s_waitcnt vmcnt(6)
	v_lshrrev_b32_e32 v0, 16, v18
	v_mul_f16_sdwa v1, v17, v0 dst_sel:DWORD dst_unused:UNUSED_PAD src0_sel:WORD_1 src1_sel:DWORD
	v_mul_f16_sdwa v2, v17, v18 dst_sel:DWORD dst_unused:UNUSED_PAD src0_sel:WORD_1 src1_sel:DWORD
	v_fma_f16 v1, v17, v18, v1
	v_fma_f16 v0, v17, v0, -v2
	v_pack_b32_f16 v0, v1, v0
	s_waitcnt vmcnt(5)
	v_lshrrev_b32_e32 v1, 16, v20
	s_waitcnt vmcnt(4)
	v_mul_f16_sdwa v2, v21, v1 dst_sel:DWORD dst_unused:UNUSED_PAD src0_sel:WORD_1 src1_sel:DWORD
	v_mul_f16_sdwa v3, v21, v20 dst_sel:DWORD dst_unused:UNUSED_PAD src0_sel:WORD_1 src1_sel:DWORD
	v_fma_f16 v2, v21, v20, v2
	v_fma_f16 v1, v21, v1, -v3
	v_pack_b32_f16 v1, v2, v1
	v_add_u32_e32 v2, 0x600, v8
	ds_write2_b32 v2, v0, v1 offset0:106 offset1:176
	s_waitcnt vmcnt(3)
	v_lshrrev_b32_e32 v0, 16, v23
	s_waitcnt vmcnt(2)
	v_mul_f16_sdwa v1, v24, v0 dst_sel:DWORD dst_unused:UNUSED_PAD src0_sel:WORD_1 src1_sel:DWORD
	v_mul_f16_sdwa v2, v24, v23 dst_sel:DWORD dst_unused:UNUSED_PAD src0_sel:WORD_1 src1_sel:DWORD
	v_fma_f16 v1, v24, v23, v1
	v_fma_f16 v0, v24, v0, -v2
	v_pack_b32_f16 v0, v1, v0
	s_waitcnt vmcnt(1)
	v_lshrrev_b32_e32 v1, 16, v22
	s_waitcnt vmcnt(0)
	v_mul_f16_sdwa v2, v25, v1 dst_sel:DWORD dst_unused:UNUSED_PAD src0_sel:WORD_1 src1_sel:DWORD
	v_mul_f16_sdwa v3, v25, v22 dst_sel:DWORD dst_unused:UNUSED_PAD src0_sel:WORD_1 src1_sel:DWORD
	v_fma_f16 v2, v25, v22, v2
	v_fma_f16 v1, v25, v1, -v3
	v_pack_b32_f16 v1, v2, v1
	v_add_u32_e32 v2, 0x800, v8
	ds_write2_b32 v2, v0, v1 offset0:118 offset1:188
.LBB0_3:
	s_or_b64 exec, exec, s[8:9]
	v_mov_b32_e32 v0, 0
	s_waitcnt lgkmcnt(0)
	s_barrier
	s_waitcnt lgkmcnt(0)
                                        ; implicit-def: $vgpr4
                                        ; implicit-def: $vgpr7
                                        ; implicit-def: $vgpr8
                                        ; implicit-def: $vgpr3
                                        ; implicit-def: $vgpr10
	s_and_saveexec_b64 s[0:1], vcc
	s_cbranch_execz .LBB0_5
; %bb.4:
	v_lshl_add_u32 v10, v19, 2, v27
	v_add_u32_e32 v4, 0x400, v10
	v_add_u32_e32 v8, 0x800, v10
	ds_read2_b32 v[0:1], v10 offset1:70
	ds_read2_b32 v[2:3], v10 offset0:140 offset1:210
	ds_read2_b32 v[6:7], v4 offset0:24 offset1:94
	ds_read2_b32 v[4:5], v4 offset0:164 offset1:234
	ds_read2_b32 v[8:9], v8 offset0:48 offset1:118
	ds_read_b32 v10, v10 offset:2800
.LBB0_5:
	s_or_b64 exec, exec, s[0:1]
	s_waitcnt lgkmcnt(0)
	v_pk_add_f16 v15, v10, v1
	v_pk_add_f16 v16, v1, v10 neg_lo:[0,1] neg_hi:[0,1]
	v_pk_add_f16 v1, v1, v0
	v_pk_add_f16 v1, v2, v1
	v_pk_add_f16 v1, v3, v1
	v_pk_add_f16 v1, v6, v1
	v_pk_add_f16 v1, v7, v1
	s_mov_b32 s8, 0xb853
	v_pk_add_f16 v1, v4, v1
	v_mul_f16_sdwa v17, v16, s8 dst_sel:DWORD dst_unused:UNUSED_PAD src0_sel:WORD_1 src1_sel:DWORD
	s_movk_i32 s3, 0x3abb
	s_mov_b32 s11, 0xbb47
	v_pk_add_f16 v18, v5, v6
	v_pk_add_f16 v20, v6, v5 neg_lo:[0,1] neg_hi:[0,1]
	v_pk_add_f16 v29, v4, v7
	v_pk_add_f16 v6, v7, v4 neg_lo:[0,1] neg_hi:[0,1]
	v_pk_add_f16 v7, v9, v2
	v_pk_add_f16 v1, v5, v1
	v_pk_add_f16 v2, v2, v9 neg_lo:[0,1] neg_hi:[0,1]
	v_fma_f16 v11, v15, s3, -v17
	s_movk_i32 s1, 0x36a6
	s_mov_b32 s10, 0xbbeb
	v_pk_add_f16 v4, v8, v3
	v_pk_add_f16 v3, v3, v8 neg_lo:[0,1] neg_hi:[0,1]
	v_mul_f16_sdwa v5, v2, s11 dst_sel:DWORD dst_unused:UNUSED_PAD src0_sel:WORD_1 src1_sel:DWORD
	v_pk_add_f16 v1, v8, v1
	s_mov_b32 s0, 0xb08e
	s_mov_b32 s9, 0xba0c
	v_pk_add_f16 v1, v9, v1
	v_fma_f16 v8, v7, s1, -v5
	v_mul_f16_sdwa v21, v3, s10 dst_sel:DWORD dst_unused:UNUSED_PAD src0_sel:WORD_1 src1_sel:DWORD
	v_add_f16_e32 v9, v11, v0
	s_mov_b32 s2, 0xb93d
	v_add_f16_e32 v8, v8, v9
	v_fma_f16 v9, v4, s0, -v21
	v_mul_f16_sdwa v22, v20, s9 dst_sel:DWORD dst_unused:UNUSED_PAD src0_sel:WORD_1 src1_sel:DWORD
	v_add_f16_e32 v8, v9, v8
	v_fma_f16 v9, v18, s2, -v22
	s_mov_b32 s15, 0xb482
	v_add_f16_e32 v9, v9, v8
	s_mov_b32 s14, 0xbbad
	v_pk_add_f16 v8, v10, v1
	v_mul_f16_sdwa v1, v6, s15 dst_sel:DWORD dst_unused:UNUSED_PAD src0_sel:WORD_1 src1_sel:DWORD
	v_fma_f16 v10, v29, s14, -v1
	v_mul_f16_sdwa v13, v16, s11 dst_sel:DWORD dst_unused:UNUSED_PAD src0_sel:WORD_1 src1_sel:DWORD
	v_add_f16_e32 v9, v10, v9
	v_fma_f16 v10, v15, s1, -v13
	v_mul_f16_sdwa v14, v2, s9 dst_sel:DWORD dst_unused:UNUSED_PAD src0_sel:WORD_1 src1_sel:DWORD
	v_add_f16_e32 v10, v10, v0
	v_fma_f16 v11, v7, s2, -v14
	s_movk_i32 s11, 0x3482
	v_mul_f16_sdwa v23, v16, s10 dst_sel:DWORD dst_unused:UNUSED_PAD src0_sel:WORD_1 src1_sel:DWORD
	v_add_f16_e32 v10, v11, v10
	v_fma_f16 v11, v15, s0, -v23
	v_mul_f16_sdwa v24, v2, s11 dst_sel:DWORD dst_unused:UNUSED_PAD src0_sel:WORD_1 src1_sel:DWORD
	v_add_f16_e32 v11, v11, v0
	v_fma_f16 v25, v7, s14, -v24
	v_add_f16_e32 v11, v25, v11
	v_mul_f16_sdwa v25, v3, s11 dst_sel:DWORD dst_unused:UNUSED_PAD src0_sel:WORD_1 src1_sel:DWORD
	v_fma_f16 v26, v4, s14, -v25
	s_movk_i32 s10, 0x3b47
	v_add_f16_e32 v10, v26, v10
	v_mul_f16_sdwa v26, v3, s10 dst_sel:DWORD dst_unused:UNUSED_PAD src0_sel:WORD_1 src1_sel:DWORD
	v_fma_f16 v31, v4, s1, -v26
	s_movk_i32 s11, 0x3beb
	v_fma_f16 v13, v15, s1, v13
	v_add_f16_e32 v11, v31, v11
	v_mul_f16_sdwa v31, v20, s11 dst_sel:DWORD dst_unused:UNUSED_PAD src0_sel:WORD_1 src1_sel:DWORD
	v_fma_f16 v14, v7, s2, v14
	v_add_f16_e32 v13, v13, v0
	v_fma_f16 v32, v18, s0, -v31
	v_add_f16_e32 v13, v14, v13
	v_fma_f16 v14, v15, s0, v23
	v_add_f16_e32 v10, v32, v10
	v_mul_f16_sdwa v32, v20, s8 dst_sel:DWORD dst_unused:UNUSED_PAD src0_sel:WORD_1 src1_sel:DWORD
	v_fma_f16 v23, v7, s14, v24
	v_add_f16_e32 v14, v14, v0
	v_fma_f16 v33, v18, s3, -v32
	s_movk_i32 s16, 0x3853
	v_add_f16_e32 v14, v23, v14
	v_fma_f16 v23, v4, s14, v25
	v_add_f16_e32 v11, v33, v11
	v_mul_f16_sdwa v33, v6, s16 dst_sel:DWORD dst_unused:UNUSED_PAD src0_sel:WORD_1 src1_sel:DWORD
	v_add_f16_e32 v13, v23, v13
	v_fma_f16 v23, v4, s1, v26
	v_fma_f16 v34, v29, s3, -v33
	v_add_f16_e32 v14, v23, v14
	v_fma_f16 v23, v18, s0, v31
	v_add_f16_e32 v10, v34, v10
	v_mul_f16_sdwa v34, v6, s9 dst_sel:DWORD dst_unused:UNUSED_PAD src0_sel:WORD_1 src1_sel:DWORD
	v_add_f16_e32 v13, v23, v13
	v_fma_f16 v23, v18, s3, v32
	v_add_f16_e32 v23, v23, v14
	v_fma_f16 v14, v29, s3, v33
	v_fma_f16 v24, v29, s2, v34
	v_fma_f16 v35, v29, s2, -v34
	v_add_f16_e32 v14, v14, v13
	v_add_f16_e32 v13, v24, v23
	v_lshrrev_b32_e32 v23, 16, v15
	v_mul_f16_e32 v24, 0xb853, v16
	v_mul_f16_e32 v26, 0xbbeb, v16
	;; [unrolled: 1-line block ×4, first 2 shown]
	s_mov_b32 s16, 0xb482bb47
	v_add_f16_e32 v11, v35, v11
	v_fma_f16 v25, v23, s3, v24
	v_fma_f16 v24, v23, s3, -v24
	v_fma_f16 v31, v23, s0, v26
	v_fma_f16 v26, v23, s0, -v26
	;; [unrolled: 2-line block ×4, first 2 shown]
	v_fma_f16 v17, v15, s3, v17
	v_mul_f16_sdwa v34, v16, s9 dst_sel:DWORD dst_unused:UNUSED_PAD src0_sel:WORD_1 src1_sel:DWORD
	s_mov_b32 s9, 0x36a6bbad
	v_pk_mul_f16 v16, v16, s16
	v_fma_f16 v36, v15, s2, -v34
	v_fma_f16 v34, v15, s2, v34
	v_pk_fma_f16 v37, v15, s9, v16 op_sel:[0,0,1] op_sel_hi:[1,1,0]
	v_pk_fma_f16 v15, v15, s9, v16 op_sel:[0,0,1] op_sel_hi:[1,1,0] neg_lo:[0,0,1] neg_hi:[0,0,1]
	v_add_f16_sdwa v16, v25, v0 dst_sel:DWORD dst_unused:UNUSED_PAD src0_sel:DWORD src1_sel:WORD_1
	v_lshrrev_b32_e32 v25, 16, v7
	v_mul_f16_e32 v38, 0xbb47, v2
	v_fma_f16 v5, v7, s1, v5
	v_add_f16_e32 v17, v17, v0
	v_add_f16_e32 v5, v5, v17
	v_fma_f16 v17, v25, s1, -v38
	v_add_f16_sdwa v24, v24, v0 dst_sel:DWORD dst_unused:UNUSED_PAD src0_sel:DWORD src1_sel:WORD_1
	v_add_f16_e32 v17, v17, v24
	v_add_f16_sdwa v24, v31, v0 dst_sel:DWORD dst_unused:UNUSED_PAD src0_sel:DWORD src1_sel:WORD_1
	v_mul_f16_e32 v31, 0x3482, v2
	v_fma_f16 v39, v25, s1, v38
	v_fma_f16 v38, v25, s14, v31
	v_fma_f16 v31, v25, s14, -v31
	v_add_f16_sdwa v26, v26, v0 dst_sel:DWORD dst_unused:UNUSED_PAD src0_sel:DWORD src1_sel:WORD_1
	v_add_f16_e32 v26, v31, v26
	v_add_f16_e32 v31, v36, v0
	v_mul_f16_sdwa v36, v2, s11 dst_sel:DWORD dst_unused:UNUSED_PAD src0_sel:WORD_1 src1_sel:DWORD
	v_add_f16_e32 v24, v38, v24
	v_fma_f16 v38, v7, s0, -v36
	v_add_f16_e32 v31, v38, v31
	v_mul_f16_e32 v38, 0x3beb, v2
	v_fma_f16 v36, v7, s0, v36
	v_add_f16_e32 v34, v34, v0
	s_mov_b32 s11, 0x3853ba0c
	v_add_f16_e32 v16, v39, v16
	v_fma_f16 v39, v25, s0, v38
	v_add_f16_e32 v34, v36, v34
	v_fma_f16 v36, v25, s0, -v38
	v_add_f16_sdwa v32, v32, v0 dst_sel:DWORD dst_unused:UNUSED_PAD src0_sel:DWORD src1_sel:WORD_1
	s_mov_b32 s9, 0xb93d3abb
	v_pk_mul_f16 v38, v2, s11
	v_add_f16_e32 v32, v36, v32
	v_pk_add_f16 v15, v15, v0
	v_pk_fma_f16 v36, v7, s9, v38 op_sel:[0,0,1] op_sel_hi:[1,1,0] neg_lo:[0,0,1] neg_hi:[0,0,1]
	v_mul_f16_e32 v2, 0x3853, v2
	v_add_f16_sdwa v33, v33, v0 dst_sel:DWORD dst_unused:UNUSED_PAD src0_sel:DWORD src1_sel:WORD_1
	v_pk_add_f16 v15, v36, v15
	v_add_f16_sdwa v23, v23, v0 dst_sel:DWORD dst_unused:UNUSED_PAD src0_sel:DWORD src1_sel:WORD_1
	v_fma_f16 v36, v25, s3, -v2
	v_add_f16_e32 v33, v39, v33
	v_add_f16_e32 v23, v36, v23
	v_lshrrev_b32_e32 v39, 16, v4
	v_mul_f16_e32 v36, 0xbbeb, v3
	v_fma_f16 v21, v4, s0, v21
	v_add_f16_e32 v5, v21, v5
	v_fma_f16 v21, v39, s0, -v36
	v_add_f16_e32 v17, v21, v17
	v_mul_f16_e32 v21, 0x3b47, v3
	v_fma_f16 v40, v39, s0, v36
	v_fma_f16 v36, v39, s1, v21
	v_fma_f16 v21, v39, s1, -v21
	v_add_f16_e32 v21, v21, v26
	v_mul_f16_sdwa v26, v3, s8 dst_sel:DWORD dst_unused:UNUSED_PAD src0_sel:WORD_1 src1_sel:DWORD
	v_add_f16_e32 v24, v36, v24
	v_fma_f16 v36, v4, s3, -v26
	v_add_f16_e32 v31, v36, v31
	v_mul_f16_e32 v36, 0xb853, v3
	v_fma_f16 v26, v4, s3, v26
	v_add_f16_e32 v26, v26, v34
	v_fma_f16 v34, v39, s3, -v36
	s_mov_b32 s8, 0xba0c3482
	v_add_f16_e32 v32, v34, v32
	s_mov_b32 s11, 0xbbadb93d
	v_pk_mul_f16 v34, v3, s8
	v_add_f16_e32 v16, v40, v16
	v_fma_f16 v40, v39, s3, v36
	v_pk_fma_f16 v36, v4, s11, v34 op_sel:[0,0,1] op_sel_hi:[1,1,0] neg_lo:[0,0,1] neg_hi:[0,0,1]
	v_mul_f16_e32 v3, 0xba0c, v3
	v_pk_add_f16 v15, v36, v15
	v_fma_f16 v36, v39, s2, -v3
	v_add_f16_e32 v33, v40, v33
	v_add_f16_e32 v23, v36, v23
	v_lshrrev_b32_e32 v40, 16, v18
	v_mul_f16_e32 v36, 0xba0c, v20
	v_fma_f16 v22, v18, s2, v22
	v_add_f16_e32 v5, v22, v5
	v_fma_f16 v22, v40, s2, -v36
	v_add_f16_e32 v17, v22, v17
	v_mul_f16_e32 v22, 0xb853, v20
	v_fma_f16 v41, v40, s2, v36
	v_fma_f16 v36, v40, s3, v22
	v_fma_f16 v22, v40, s3, -v22
	v_add_f16_e32 v16, v41, v16
	v_add_f16_e32 v41, v22, v21
	v_mul_f16_sdwa v21, v20, s15 dst_sel:DWORD dst_unused:UNUSED_PAD src0_sel:WORD_1 src1_sel:DWORD
	v_fma_f16 v22, v18, s14, -v21
	v_add_f16_e32 v31, v22, v31
	v_mul_f16_e32 v22, 0xb482, v20
	v_fma_f16 v21, v18, s14, v21
	s_mov_b32 s8, 0x3b473beb
	v_add_f16_e32 v42, v21, v26
	v_fma_f16 v21, v40, s14, -v22
	s_mov_b32 s3, 0xb08e36a6
	v_pk_mul_f16 v43, v20, s8
	v_add_f16_e32 v32, v21, v32
	v_pk_fma_f16 v21, v18, s3, v43 op_sel:[0,0,1] op_sel_hi:[1,1,0] neg_lo:[0,0,1] neg_hi:[0,0,1]
	v_mul_f16_e32 v44, 0x3b47, v20
	v_pk_add_f16 v15, v21, v15
	v_fma_f16 v20, v40, s1, -v44
	v_lshrrev_b32_e32 v46, 16, v29
	v_mul_f16_e32 v21, 0xb482, v6
	v_fma_f16 v1, v29, s14, v1
	v_add_f16_e32 v24, v36, v24
	v_fma_f16 v36, v40, s14, v22
	v_add_f16_e32 v45, v20, v23
	v_fma_f16 v20, v46, s14, v21
	v_add_f16_e32 v26, v1, v5
	v_fma_f16 v1, v46, s14, -v21
	v_pk_mul_f16 v7, v7, s9
	v_add_f16_e32 v33, v36, v33
	v_add_f16_e32 v20, v20, v16
	v_add_f16_e32 v36, v1, v17
	v_mul_f16_e32 v1, 0x3abb, v25
	s_mov_b32 s8, 0x5040100
	v_add_f16_sdwa v5, v37, v0 dst_sel:DWORD dst_unused:UNUSED_PAD src0_sel:WORD_1 src1_sel:WORD_1
	v_add_f16_sdwa v16, v38, v7 dst_sel:DWORD dst_unused:UNUSED_PAD src0_sel:DWORD src1_sel:WORD_1
	v_pk_mul_f16 v4, v4, s11
	v_perm_b32 v1, v0, v1, s8
	s_mov_b32 s14, 0x7060302
	v_add_f16_e32 v5, v16, v5
	v_add_f16_sdwa v16, v34, v4 dst_sel:DWORD dst_unused:UNUSED_PAD src0_sel:DWORD src1_sel:WORD_1
	v_pk_mul_f16 v17, v18, s3
	s_mov_b32 s3, 0x3abbb08e
	s_mov_b32 s9, 0xbbeb3853
	v_pack_b32_f16 v2, v2, v37
	v_perm_b32 v0, v38, v0, s14
	v_add_f16_e32 v5, v16, v5
	v_add_f16_sdwa v16, v43, v17 dst_sel:DWORD dst_unused:UNUSED_PAD src0_sel:DWORD src1_sel:WORD_1
	v_pk_mul_f16 v18, v29, s3
	v_pk_mul_f16 v38, v6, s9
	v_pk_add_f16 v1, v2, v1
	v_pack_b32_f16 v2, v35, v7
	v_add_f16_e32 v5, v16, v5
	v_add_f16_sdwa v16, v38, v18 dst_sel:DWORD dst_unused:UNUSED_PAD src0_sel:DWORD src1_sel:WORD_1
	v_pk_add_f16 v0, v2, v0
	v_mul_f16_e32 v2, 0xb93d, v39
	s_mov_b32 s9, 0xffff
	v_add_f16_e32 v21, v16, v5
	v_mul_f16_e32 v5, 0xba0c, v6
	v_pk_add_f16 v0, v0, v1
	v_pack_b32_f16 v1, v3, v4
	v_bfi_b32 v2, s9, v2, v34
	v_fma_f16 v16, v46, s2, v5
	v_fma_f16 v5, v46, s2, -v5
	v_pk_add_f16 v1, v1, v2
	v_mul_f16_e32 v2, 0x36a6, v40
	v_add_f16_e32 v23, v5, v41
	v_mul_f16_e32 v5, 0x3b47, v6
	v_pk_add_f16 v0, v1, v0
	v_pack_b32_f16 v1, v44, v17
	v_bfi_b32 v2, s9, v2, v43
	v_add_f16_e32 v22, v16, v24
	v_fma_f16 v16, v46, s1, v5
	v_pk_add_f16 v1, v1, v2
	v_add_f16_e32 v25, v16, v33
	v_pk_fma_f16 v16, v29, s3, v38 op_sel:[0,0,1] op_sel_hi:[1,1,0] neg_lo:[0,0,1] neg_hi:[0,0,1]
	v_pk_add_f16 v0, v1, v0
	v_mul_f16_e32 v1, 0xb08e, v46
	v_mul_f16_e32 v2, 0xbbeb, v6
	s_load_dwordx2 s[2:3], s[4:5], 0x8
	v_fma_f16 v5, v46, s1, -v5
	v_bfi_b32 v1, s9, v1, v38
	v_pack_b32_f16 v3, v2, v18
	v_add_f16_e32 v24, v5, v32
	v_mul_f16_sdwa v5, v6, s10 dst_sel:DWORD dst_unused:UNUSED_PAD src0_sel:WORD_1 src1_sel:DWORD
	v_pk_add_f16 v1, v3, v1
	v_fma_f16 v32, v29, s1, -v5
	v_fma_f16 v5, v29, s1, v5
	v_pk_add_f16 v29, v1, v0
	v_fma_f16 v0, v46, s0, -v2
	v_pk_add_f16 v16, v16, v15
	v_add_f16_e32 v37, v0, v45
	v_add_f16_e32 v15, v32, v31
	;; [unrolled: 1-line block ×3, first 2 shown]
	v_mul_lo_u16_e32 v35, 11, v28
	s_waitcnt lgkmcnt(0)
	s_barrier
	s_and_saveexec_b64 s[0:1], vcc
	s_cbranch_execz .LBB0_7
; %bb.6:
	v_add_lshl_u32 v0, v19, v35, 2
	v_perm_b32 v1, v20, v9, s8
	ds_write2_b32 v0, v8, v1 offset1:1
	v_perm_b32 v1, v22, v11, s8
	v_perm_b32 v2, v21, v10, s8
	ds_write2_b32 v0, v2, v1 offset0:2 offset1:3
	v_perm_b32 v1, v25, v15, s8
	ds_write_b32 v0, v1 offset:16
	v_perm_b32 v1, v29, v16, s8
	v_alignbit_b32 v2, v37, v29, 16
	ds_write2_b32 v0, v1, v2 offset0:5 offset1:6
	v_perm_b32 v1, v23, v13, s8
	v_perm_b32 v2, v24, v18, s8
	ds_write2_b32 v0, v2, v1 offset0:7 offset1:8
	v_perm_b32 v1, v36, v26, s8
	v_bfi_b32 v2, s9, v14, v16
	ds_write2_b32 v0, v2, v1 offset0:9 offset1:10
.LBB0_7:
	s_or_b64 exec, exec, s[0:1]
	s_load_dwordx2 s[4:5], s[4:5], 0x20
	s_movk_i32 s0, 0x4d
	v_cmp_gt_u16_e64 s[0:1], s0, v28
	v_lshrrev_b32_e32 v17, 16, v29
	v_add_lshl_u32 v31, v19, v28, 2
	s_waitcnt lgkmcnt(0)
	s_barrier
	s_and_saveexec_b64 s[8:9], s[0:1]
	s_cbranch_execz .LBB0_9
; %bb.8:
	v_add_u32_e32 v0, 0x400, v31
	ds_read2_b32 v[8:9], v31 offset1:77
	ds_read2_b32 v[10:11], v31 offset0:154 offset1:231
	ds_read2_b32 v[15:16], v0 offset0:52 offset1:129
	v_add_u32_e32 v0, 0x600, v31
	ds_read2_b32 v[17:18], v0 offset0:78 offset1:155
	v_add_u32_e32 v0, 0x800, v31
	ds_read2_b32 v[13:14], v0 offset0:104 offset1:181
	s_mov_b32 s10, 0xffff
	s_waitcnt lgkmcnt(4)
	v_lshrrev_b32_e32 v20, 16, v9
	s_waitcnt lgkmcnt(3)
	v_lshrrev_b32_e32 v21, 16, v10
	v_lshrrev_b32_e32 v22, 16, v11
	s_waitcnt lgkmcnt(2)
	v_lshrrev_b32_e32 v25, 16, v15
	;; [unrolled: 3-line block ×4, first 2 shown]
	v_bfi_b32 v16, s10, v16, v14
.LBB0_9:
	s_or_b64 exec, exec, s[8:9]
	s_movk_i32 s8, 0x75
	v_mul_lo_u16_sdwa v0, v28, s8 dst_sel:DWORD dst_unused:UNUSED_PAD src0_sel:BYTE_0 src1_sel:DWORD
	v_sub_u16_sdwa v1, v28, v0 dst_sel:DWORD dst_unused:UNUSED_PAD src0_sel:DWORD src1_sel:BYTE_1
	v_lshrrev_b16_e32 v1, 1, v1
	v_and_b32_e32 v1, 0x7f, v1
	v_add_u16_sdwa v0, v1, v0 dst_sel:DWORD dst_unused:UNUSED_PAD src0_sel:DWORD src1_sel:BYTE_1
	v_lshrrev_b16_e32 v32, 3, v0
	v_mul_lo_u16_e32 v0, 11, v32
	v_sub_u16_e32 v0, v28, v0
	v_and_b32_e32 v33, 0xff, v0
	v_mad_u64_u32 v[38:39], s[8:9], v33, 36, s[2:3]
	v_lshrrev_b32_e32 v40, 16, v8
	s_movk_i32 s8, 0x3b9c
	global_load_dwordx4 v[0:3], v[38:39], off
	global_load_dwordx4 v[4:7], v[38:39], off offset:16
	global_load_dword v34, v[38:39], off offset:32
	v_lshrrev_b32_e32 v38, 16, v16
	s_mov_b32 s11, 0xbb9c
	s_movk_i32 s9, 0x38b4
	s_mov_b32 s14, 0xb8b4
	s_movk_i32 s10, 0x34f2
	s_waitcnt vmcnt(0)
	s_barrier
	v_mul_f16_sdwa v39, v21, v1 dst_sel:DWORD dst_unused:UNUSED_PAD src0_sel:DWORD src1_sel:WORD_1
	v_mul_f16_sdwa v42, v10, v1 dst_sel:DWORD dst_unused:UNUSED_PAD src0_sel:DWORD src1_sel:WORD_1
	;; [unrolled: 1-line block ×16, first 2 shown]
	v_fma_f16 v41, v10, v1, -v39
	v_fma_f16 v10, v11, v2, -v43
	;; [unrolled: 1-line block ×3, first 2 shown]
	v_fma_f16 v43, v21, v1, v42
	v_fma_f16 v42, v22, v2, v44
	;; [unrolled: 1-line block ×4, first 2 shown]
	v_fma_f16 v22, v17, v5, -v49
	v_fma_f16 v29, v24, v6, v52
	v_fma_f16 v24, v13, v7, -v53
	v_fma_f16 v23, v23, v7, v54
	v_mul_f16_sdwa v58, v20, v0 dst_sel:DWORD dst_unused:UNUSED_PAD src0_sel:DWORD src1_sel:WORD_1
	v_fma_f16 v15, v16, v4, -v47
	v_fma_f16 v45, v37, v5, v50
	v_fma_f16 v21, v18, v6, -v51
	v_fma_f16 v13, v14, v34, -v55
	v_fma_f16 v14, v38, v34, v56
	v_sub_f16_e32 v16, v41, v11
	v_sub_f16_e32 v17, v24, v22
	v_add_f16_e32 v18, v41, v24
	v_sub_f16_e32 v37, v11, v41
	v_sub_f16_e32 v38, v22, v24
	v_add_f16_e32 v47, v43, v23
	v_mul_f16_sdwa v57, v9, v0 dst_sel:DWORD dst_unused:UNUSED_PAD src0_sel:DWORD src1_sel:WORD_1
	v_fma_f16 v9, v9, v0, -v58
	v_sub_f16_e32 v51, v44, v45
	v_sub_f16_e32 v52, v11, v22
	;; [unrolled: 1-line block ×4, first 2 shown]
	v_add_f16_e32 v58, v16, v17
	v_add_f16_e32 v16, v37, v38
	v_fma_f16 v18, v18, -0.5, v8
	v_fma_f16 v37, v47, -0.5, v40
	v_fma_f16 v20, v20, v0, v57
	v_sub_f16_e32 v50, v43, v23
	v_sub_f16_e32 v48, v44, v43
	;; [unrolled: 1-line block ×4, first 2 shown]
	v_add_f16_e32 v57, v39, v46
	v_fma_f16 v46, v51, s11, v18
	v_fma_f16 v18, v51, s8, v18
	;; [unrolled: 1-line block ×4, first 2 shown]
	v_add_f16_e32 v17, v48, v49
	v_fma_f16 v18, v50, s14, v18
	v_fma_f16 v37, v53, s9, v37
	v_add_f16_e32 v62, v10, v13
	v_fma_f16 v48, v53, s14, v47
	v_fma_f16 v47, v16, s10, v18
	;; [unrolled: 1-line block ×3, first 2 shown]
	v_sub_f16_e32 v18, v42, v25
	v_sub_f16_e32 v37, v14, v29
	;; [unrolled: 1-line block ×5, first 2 shown]
	v_fma_f16 v39, v62, -0.5, v9
	v_add_f16_e32 v63, v18, v37
	v_sub_f16_e32 v18, v25, v42
	v_sub_f16_e32 v37, v29, v14
	;; [unrolled: 1-line block ×5, first 2 shown]
	v_add_f16_e32 v56, v56, v59
	v_fma_f16 v59, v55, s11, v39
	v_fma_f16 v46, v50, s9, v46
	;; [unrolled: 1-line block ×4, first 2 shown]
	v_add_f16_e32 v18, v18, v37
	v_add_f16_e32 v37, v42, v14
	;; [unrolled: 1-line block ×3, first 2 shown]
	v_fma_f16 v46, v16, s10, v46
	v_fma_f16 v16, v54, s9, v59
	;; [unrolled: 1-line block ×3, first 2 shown]
	v_fma_f16 v37, v37, -0.5, v20
	v_sub_f16_e32 v68, v15, v21
	v_fma_f16 v16, v38, s10, v16
	v_fma_f16 v17, v38, s10, v17
	v_sub_f16_e32 v67, v10, v13
	v_fma_f16 v38, v68, s8, v37
	v_fma_f16 v38, v67, s14, v38
	;; [unrolled: 1-line block ×6, first 2 shown]
	v_mul_f16_e32 v37, 0x3b9c, v38
	v_fma_f16 v59, v16, s10, v37
	v_mul_f16_e32 v16, 0xbb9c, v16
	v_fma_f16 v61, v38, s10, v16
	v_mul_f16_e32 v16, 0x34f2, v17
	v_fma_f16 v60, v18, s8, -v16
	v_mul_f16_e32 v16, 0x34f2, v18
	v_fma_f16 v62, v17, s11, -v16
	v_add_f16_e32 v16, v15, v21
	v_fma_f16 v71, v16, -0.5, v9
	v_add_f16_e32 v17, v25, v29
	v_fma_f16 v16, v54, s11, v71
	v_fma_f16 v72, v17, -0.5, v20
	v_fma_f16 v16, v55, s14, v16
	v_fma_f16 v17, v67, s8, v72
	;; [unrolled: 1-line block ×5, first 2 shown]
	v_mul_f16_e32 v18, 0x3a79, v16
	v_fma_f16 v64, v17, s9, -v18
	v_mul_f16_e32 v17, 0x3a79, v17
	v_fma_f16 v66, v16, s14, -v17
	v_add_f16_e32 v16, v11, v22
	v_fma_f16 v70, v16, -0.5, v8
	v_fma_f16 v16, v50, s11, v70
	v_fma_f16 v16, v51, s14, v16
	;; [unrolled: 1-line block ×3, first 2 shown]
	v_add_f16_e32 v16, v44, v45
	v_fma_f16 v73, v16, -0.5, v40
	v_fma_f16 v16, v53, s8, v73
	v_fma_f16 v16, v52, s9, v16
	;; [unrolled: 1-line block ×3, first 2 shown]
	s_movk_i32 s10, 0x3a79
	v_sub_f16_e32 v17, v47, v60
	v_sub_f16_e32 v18, v65, v64
	;; [unrolled: 1-line block ×6, first 2 shown]
	s_and_saveexec_b64 s[8:9], s[0:1]
	s_cbranch_execz .LBB0_11
; %bb.10:
	v_mul_f16_e32 v53, 0x3b9c, v53
	v_mul_f16_e32 v52, 0x38b4, v52
	;; [unrolled: 1-line block ×4, first 2 shown]
	v_sub_f16_e32 v53, v73, v53
	v_mul_f16_e32 v55, 0x38b4, v55
	v_mul_f16_e32 v68, 0x38b4, v68
	v_sub_f16_e32 v52, v53, v52
	v_sub_f16_e32 v53, v72, v67
	v_add_f16_e32 v54, v71, v54
	v_add_f16_e32 v8, v8, v41
	;; [unrolled: 1-line block ×3, first 2 shown]
	v_mul_f16_e32 v50, 0x3b9c, v50
	v_mul_f16_e32 v56, 0x34f2, v56
	;; [unrolled: 1-line block ×3, first 2 shown]
	v_sub_f16_e32 v53, v53, v68
	v_add_f16_e32 v54, v55, v54
	v_add_f16_e32 v40, v40, v43
	;; [unrolled: 1-line block ×5, first 2 shown]
	v_mul_f16_e32 v51, 0x38b4, v51
	v_add_f16_e32 v53, v63, v53
	v_add_f16_e32 v54, v56, v54
	;; [unrolled: 1-line block ×7, first 2 shown]
	v_mul_f16_e32 v58, 0x34f2, v58
	v_mul_f16_e32 v57, 0x34f2, v57
	v_mul_f16_e32 v55, 0x38b4, v54
	v_add_f16_e32 v40, v40, v45
	v_add_f16_e32 v20, v20, v29
	;; [unrolled: 1-line block ×3, first 2 shown]
	v_mul_f16_e32 v29, 0x38b4, v53
	v_add_f16_e32 v8, v8, v24
	v_add_f16_e32 v9, v9, v13
	;; [unrolled: 1-line block ×3, first 2 shown]
	v_fma_f16 v55, v53, s10, -v55
	v_add_f16_e32 v23, v40, v23
	v_add_f16_e32 v14, v20, v14
	;; [unrolled: 1-line block ×3, first 2 shown]
	v_fma_f16 v29, v54, s10, v29
	v_sub_f16_e32 v10, v8, v9
	v_add_f16_e32 v8, v8, v9
	v_mul_u32_u24_e32 v9, 0x6e, v32
	v_sub_f16_e32 v20, v23, v14
	v_sub_f16_e32 v40, v25, v29
	v_add_f16_e32 v21, v52, v55
	v_add_f16_e32 v14, v23, v14
	;; [unrolled: 1-line block ×3, first 2 shown]
	v_add_u32_e32 v9, v9, v33
	v_add_f16_e32 v13, v49, v62
	v_add_f16_e32 v15, v48, v61
	;; [unrolled: 1-line block ×4, first 2 shown]
	v_add_lshl_u32 v9, v19, v9, 2
	v_pack_b32_f16 v8, v8, v14
	v_pack_b32_f16 v14, v25, v21
	v_add_f16_e32 v11, v69, v66
	v_add_f16_e32 v22, v65, v64
	ds_write2_b32 v9, v8, v14 offset1:11
	v_pack_b32_f16 v8, v24, v15
	v_pack_b32_f16 v13, v23, v13
	v_sub_f16_e32 v56, v52, v55
	ds_write2_b32 v9, v8, v13 offset0:22 offset1:33
	v_pack_b32_f16 v8, v22, v11
	v_pack_b32_f16 v10, v10, v20
	s_mov_b32 s10, 0x5040100
	ds_write2_b32 v9, v8, v10 offset0:44 offset1:55
	v_pack_b32_f16 v8, v40, v56
	v_perm_b32 v10, v37, v16, s10
	ds_write2_b32 v9, v8, v10 offset0:66 offset1:77
	v_perm_b32 v8, v38, v17, s10
	v_perm_b32 v10, v39, v18, s10
	ds_write2_b32 v9, v8, v10 offset0:88 offset1:99
.LBB0_11:
	s_or_b64 exec, exec, s[8:9]
	v_mad_u64_u32 v[19:20], s[2:3], v28, 24, s[2:3]
	s_load_dwordx4 s[8:11], s[4:5], 0x0
	s_waitcnt lgkmcnt(0)
	s_barrier
	global_load_dwordx4 v[8:11], v[19:20], off offset:396
	global_load_dwordx2 v[13:14], v[19:20], off offset:412
	v_add_u32_e32 v15, 0x200, v31
	v_add_u32_e32 v19, 0x600, v31
	ds_read2_b32 v[20:21], v31 offset1:110
	ds_read_b32 v29, v31 offset:2640
	ds_read2_b32 v[22:23], v15 offset0:92 offset1:202
	ds_read2_b32 v[24:25], v19 offset0:56 offset1:166
	s_movk_i32 s2, 0x2b26
	s_waitcnt lgkmcnt(3)
	v_lshrrev_b32_e32 v15, 16, v21
	s_waitcnt lgkmcnt(2)
	v_lshrrev_b32_e32 v19, 16, v29
	;; [unrolled: 2-line block ×4, first 2 shown]
	v_lshrrev_b32_e32 v41, 16, v23
	v_lshrrev_b32_e32 v42, 16, v24
	s_mov_b32 s4, 0xbcab
	s_movk_i32 s3, 0x3b00
	s_waitcnt vmcnt(1)
	v_mul_f16_sdwa v44, v15, v8 dst_sel:DWORD dst_unused:UNUSED_PAD src0_sel:DWORD src1_sel:WORD_1
	v_mul_f16_sdwa v45, v21, v8 dst_sel:DWORD dst_unused:UNUSED_PAD src0_sel:DWORD src1_sel:WORD_1
	;; [unrolled: 1-line block ×4, first 2 shown]
	s_waitcnt vmcnt(0)
	v_mul_f16_sdwa v52, v43, v13 dst_sel:DWORD dst_unused:UNUSED_PAD src0_sel:DWORD src1_sel:WORD_1
	v_mul_f16_sdwa v53, v25, v13 dst_sel:DWORD dst_unused:UNUSED_PAD src0_sel:DWORD src1_sel:WORD_1
	;; [unrolled: 1-line block ×8, first 2 shown]
	v_fma_f16 v21, v21, v8, -v44
	v_fma_f16 v15, v15, v8, v45
	v_fma_f16 v22, v22, v9, -v46
	v_fma_f16 v40, v40, v9, v47
	;; [unrolled: 2-line block ×6, first 2 shown]
	v_add_f16_e32 v44, v21, v29
	v_add_f16_e32 v45, v15, v19
	v_sub_f16_e32 v21, v21, v29
	v_sub_f16_e32 v15, v15, v19
	v_add_f16_e32 v19, v22, v25
	v_add_f16_e32 v29, v40, v43
	v_sub_f16_e32 v22, v22, v25
	v_sub_f16_e32 v25, v40, v43
	;; [unrolled: 4-line block ×4, first 2 shown]
	v_sub_f16_e32 v44, v44, v40
	v_sub_f16_e32 v45, v45, v43
	;; [unrolled: 1-line block ×3, first 2 shown]
	v_add_f16_e32 v19, v23, v22
	v_add_f16_e32 v41, v40, v41
	;; [unrolled: 1-line block ×3, first 2 shown]
	v_sub_f16_e32 v29, v43, v29
	v_add_f16_e32 v49, v24, v25
	v_sub_f16_e32 v50, v23, v22
	v_sub_f16_e32 v23, v21, v23
	;; [unrolled: 1-line block ×3, first 2 shown]
	v_add_f16_e32 v21, v19, v21
	v_mul_f16_e32 v43, 0x3a52, v44
	v_mul_f16_e32 v44, 0x3a52, v45
	v_add_f16_e32 v19, v20, v41
	v_add_f16_sdwa v40, v20, v42 dst_sel:DWORD dst_unused:UNUSED_PAD src0_sel:WORD_1 src1_sel:DWORD
	v_sub_f16_e32 v51, v24, v25
	v_sub_f16_e32 v24, v15, v24
	;; [unrolled: 1-line block ×3, first 2 shown]
	v_add_f16_e32 v15, v49, v15
	v_mul_f16_e32 v45, 0x2b26, v48
	v_mul_f16_e32 v49, 0x2b26, v29
	v_fma_f16 v20, v41, s4, v19
	v_fma_f16 v41, v42, s4, v40
	;; [unrolled: 1-line block ×4, first 2 shown]
	s_movk_i32 s2, 0x39e0
	v_fma_f16 v45, v46, s2, -v45
	v_fma_f16 v48, v47, s2, -v49
	s_mov_b32 s2, 0xb9e0
	v_mul_f16_e32 v50, 0xb846, v50
	v_mul_f16_e32 v51, 0xb846, v51
	v_fma_f16 v43, v46, s2, -v43
	v_fma_f16 v44, v47, s2, -v44
	s_movk_i32 s2, 0x3574
	v_mul_f16_e32 v52, 0x3b00, v22
	v_mul_f16_e32 v53, 0x3b00, v25
	v_fma_f16 v46, v23, s2, v50
	v_fma_f16 v47, v24, s2, v51
	s_mov_b32 s2, 0xb574
	v_fma_f16 v23, v23, s2, -v52
	v_fma_f16 v24, v24, s2, -v53
	s_movk_i32 s2, 0x370e
	v_fma_f16 v22, v22, s3, -v50
	v_fma_f16 v25, v25, s3, -v51
	v_add_f16_e32 v42, v42, v20
	v_add_f16_e32 v29, v29, v41
	;; [unrolled: 1-line block ×4, first 2 shown]
	v_fma_f16 v44, v21, s2, v46
	v_fma_f16 v51, v15, s2, v47
	v_add_f16_e32 v49, v45, v20
	v_add_f16_e32 v50, v43, v20
	v_fma_f16 v22, v21, s2, v22
	v_fma_f16 v43, v15, s2, v25
	;; [unrolled: 1-line block ×4, first 2 shown]
	v_add_f16_e32 v20, v51, v42
	v_sub_f16_e32 v47, v29, v44
	v_add_f16_e32 v24, v15, v50
	v_sub_f16_e32 v46, v41, v23
	v_sub_f16_e32 v25, v49, v43
	v_add_f16_e32 v45, v22, v48
	v_add_f16_e32 v21, v43, v49
	v_sub_f16_e32 v43, v48, v22
	v_sub_f16_e32 v22, v50, v15
	v_add_f16_e32 v41, v23, v41
	v_sub_f16_e32 v15, v42, v51
	v_add_f16_e32 v42, v44, v29
	v_lshl_add_u32 v29, v28, 2, v30
	v_pack_b32_f16 v23, v19, v40
	v_pack_b32_f16 v44, v20, v47
	ds_write2_b32 v29, v23, v44 offset1:110
	v_pack_b32_f16 v23, v24, v46
	v_pack_b32_f16 v44, v25, v45
	v_add_u32_e32 v48, 0x200, v29
	ds_write2_b32 v48, v23, v44 offset0:92 offset1:202
	v_pack_b32_f16 v23, v21, v43
	v_pack_b32_f16 v44, v22, v41
	v_add_u32_e32 v48, 0x600, v29
	ds_write2_b32 v48, v23, v44 offset0:56 offset1:166
	v_pack_b32_f16 v23, v15, v42
	ds_write_b32 v29, v23 offset:2640
	s_waitcnt lgkmcnt(0)
	s_barrier
	s_and_saveexec_b64 s[2:3], vcc
	s_cbranch_execz .LBB0_13
; %bb.12:
	global_load_dword v44, v27, s[6:7] offset:3080
	ds_read2_b32 v[48:49], v29 offset1:70
	s_add_u32 s4, s6, 0xc08
	s_addc_u32 s5, s7, 0
	s_waitcnt lgkmcnt(0)
	v_lshrrev_b32_e32 v23, 16, v48
	s_waitcnt vmcnt(0)
	v_mul_f16_sdwa v50, v23, v44 dst_sel:DWORD dst_unused:UNUSED_PAD src0_sel:DWORD src1_sel:WORD_1
	v_fma_f16 v50, v48, v44, -v50
	v_mul_f16_sdwa v48, v48, v44 dst_sel:DWORD dst_unused:UNUSED_PAD src0_sel:DWORD src1_sel:WORD_1
	v_fma_f16 v23, v23, v44, v48
	global_load_dword v48, v27, s[4:5] offset:280
	v_lshrrev_b32_e32 v44, 16, v49
	v_pack_b32_f16 v23, v50, v23
	s_waitcnt vmcnt(0)
	v_mul_f16_sdwa v50, v44, v48 dst_sel:DWORD dst_unused:UNUSED_PAD src0_sel:DWORD src1_sel:WORD_1
	v_fma_f16 v50, v49, v48, -v50
	v_mul_f16_sdwa v49, v49, v48 dst_sel:DWORD dst_unused:UNUSED_PAD src0_sel:DWORD src1_sel:WORD_1
	v_fma_f16 v44, v44, v48, v49
	v_pack_b32_f16 v44, v50, v44
	ds_write2_b32 v29, v23, v44 offset1:70
	global_load_dword v44, v27, s[4:5] offset:560
	ds_read2_b32 v[48:49], v29 offset0:140 offset1:210
	s_waitcnt lgkmcnt(0)
	v_lshrrev_b32_e32 v23, 16, v48
	s_waitcnt vmcnt(0)
	v_mul_f16_sdwa v50, v23, v44 dst_sel:DWORD dst_unused:UNUSED_PAD src0_sel:DWORD src1_sel:WORD_1
	v_fma_f16 v50, v48, v44, -v50
	v_mul_f16_sdwa v48, v48, v44 dst_sel:DWORD dst_unused:UNUSED_PAD src0_sel:DWORD src1_sel:WORD_1
	v_fma_f16 v23, v23, v44, v48
	global_load_dword v48, v27, s[4:5] offset:840
	v_lshrrev_b32_e32 v44, 16, v49
	v_pack_b32_f16 v23, v50, v23
	s_waitcnt vmcnt(0)
	v_mul_f16_sdwa v50, v44, v48 dst_sel:DWORD dst_unused:UNUSED_PAD src0_sel:DWORD src1_sel:WORD_1
	v_fma_f16 v50, v49, v48, -v50
	v_mul_f16_sdwa v49, v49, v48 dst_sel:DWORD dst_unused:UNUSED_PAD src0_sel:DWORD src1_sel:WORD_1
	v_fma_f16 v44, v44, v48, v49
	v_pack_b32_f16 v44, v50, v44
	global_load_dword v50, v27, s[4:5] offset:1120
	ds_write2_b32 v29, v23, v44 offset0:140 offset1:210
	v_add_u32_e32 v23, 0x400, v29
	ds_read2_b32 v[48:49], v23 offset0:24 offset1:94
	s_waitcnt lgkmcnt(0)
	v_lshrrev_b32_e32 v44, 16, v48
	s_waitcnt vmcnt(0)
	v_mul_f16_sdwa v51, v44, v50 dst_sel:DWORD dst_unused:UNUSED_PAD src0_sel:DWORD src1_sel:WORD_1
	v_fma_f16 v51, v48, v50, -v51
	v_mul_f16_sdwa v48, v48, v50 dst_sel:DWORD dst_unused:UNUSED_PAD src0_sel:DWORD src1_sel:WORD_1
	v_fma_f16 v44, v44, v50, v48
	global_load_dword v50, v27, s[4:5] offset:1400
	v_lshrrev_b32_e32 v48, 16, v49
	v_pack_b32_f16 v44, v51, v44
	s_waitcnt vmcnt(0)
	v_mul_f16_sdwa v51, v48, v50 dst_sel:DWORD dst_unused:UNUSED_PAD src0_sel:DWORD src1_sel:WORD_1
	v_fma_f16 v51, v49, v50, -v51
	v_mul_f16_sdwa v49, v49, v50 dst_sel:DWORD dst_unused:UNUSED_PAD src0_sel:DWORD src1_sel:WORD_1
	v_fma_f16 v48, v48, v50, v49
	global_load_dword v50, v27, s[4:5] offset:1680
	v_pack_b32_f16 v48, v51, v48
	ds_write2_b32 v23, v44, v48 offset0:24 offset1:94
	ds_read2_b32 v[48:49], v23 offset0:164 offset1:234
	s_waitcnt lgkmcnt(0)
	v_lshrrev_b32_e32 v44, 16, v48
	s_waitcnt vmcnt(0)
	v_mul_f16_sdwa v51, v44, v50 dst_sel:DWORD dst_unused:UNUSED_PAD src0_sel:DWORD src1_sel:WORD_1
	v_fma_f16 v51, v48, v50, -v51
	v_mul_f16_sdwa v48, v48, v50 dst_sel:DWORD dst_unused:UNUSED_PAD src0_sel:DWORD src1_sel:WORD_1
	v_fma_f16 v44, v44, v50, v48
	global_load_dword v50, v27, s[4:5] offset:1960
	v_lshrrev_b32_e32 v48, 16, v49
	v_pack_b32_f16 v44, v51, v44
	s_waitcnt vmcnt(0)
	v_mul_f16_sdwa v51, v48, v50 dst_sel:DWORD dst_unused:UNUSED_PAD src0_sel:DWORD src1_sel:WORD_1
	v_fma_f16 v51, v49, v50, -v51
	v_mul_f16_sdwa v49, v49, v50 dst_sel:DWORD dst_unused:UNUSED_PAD src0_sel:DWORD src1_sel:WORD_1
	v_fma_f16 v48, v48, v50, v49
	global_load_dword v50, v27, s[4:5] offset:2240
	v_pack_b32_f16 v48, v51, v48
	ds_write2_b32 v23, v44, v48 offset0:164 offset1:234
	v_add_u32_e32 v23, 0x800, v29
	ds_read2_b32 v[48:49], v23 offset0:48 offset1:118
	s_waitcnt lgkmcnt(0)
	v_lshrrev_b32_e32 v44, 16, v48
	s_waitcnt vmcnt(0)
	v_mul_f16_sdwa v51, v44, v50 dst_sel:DWORD dst_unused:UNUSED_PAD src0_sel:DWORD src1_sel:WORD_1
	v_fma_f16 v51, v48, v50, -v51
	v_mul_f16_sdwa v48, v48, v50 dst_sel:DWORD dst_unused:UNUSED_PAD src0_sel:DWORD src1_sel:WORD_1
	v_fma_f16 v44, v44, v50, v48
	global_load_dword v50, v27, s[4:5] offset:2520
	v_lshrrev_b32_e32 v48, 16, v49
	v_pack_b32_f16 v44, v51, v44
	s_waitcnt vmcnt(0)
	v_mul_f16_sdwa v51, v48, v50 dst_sel:DWORD dst_unused:UNUSED_PAD src0_sel:DWORD src1_sel:WORD_1
	v_fma_f16 v51, v49, v50, -v51
	v_mul_f16_sdwa v49, v49, v50 dst_sel:DWORD dst_unused:UNUSED_PAD src0_sel:DWORD src1_sel:WORD_1
	v_fma_f16 v48, v48, v50, v49
	v_pack_b32_f16 v48, v51, v48
	ds_write2_b32 v23, v44, v48 offset0:48 offset1:118
	global_load_dword v48, v27, s[4:5] offset:2800
	ds_read_b32 v23, v29 offset:2800
	s_waitcnt lgkmcnt(0)
	v_lshrrev_b32_e32 v44, 16, v23
	s_waitcnt vmcnt(0)
	v_mul_f16_sdwa v49, v44, v48 dst_sel:DWORD dst_unused:UNUSED_PAD src0_sel:DWORD src1_sel:WORD_1
	v_fma_f16 v49, v23, v48, -v49
	v_mul_f16_sdwa v23, v23, v48 dst_sel:DWORD dst_unused:UNUSED_PAD src0_sel:DWORD src1_sel:WORD_1
	v_fma_f16 v23, v44, v48, v23
	v_pack_b32_f16 v23, v49, v23
	ds_write_b32 v29, v23 offset:2800
.LBB0_13:
	s_or_b64 exec, exec, s[2:3]
	s_waitcnt lgkmcnt(0)
	s_barrier
	s_and_saveexec_b64 s[2:3], vcc
	s_cbranch_execz .LBB0_15
; %bb.14:
	v_add_u32_e32 v15, 0x400, v29
	v_add_u32_e32 v17, 0x800, v29
	ds_read2_b32 v[19:20], v29 offset1:70
	ds_read2_b32 v[24:25], v29 offset0:140 offset1:210
	ds_read2_b32 v[21:22], v15 offset0:24 offset1:94
	;; [unrolled: 1-line block ×4, first 2 shown]
	ds_read_b32 v26, v29 offset:2800
	s_waitcnt lgkmcnt(5)
	v_lshrrev_b32_e32 v40, 16, v19
	v_lshrrev_b32_e32 v47, 16, v20
	s_waitcnt lgkmcnt(4)
	v_lshrrev_b32_e32 v46, 16, v24
	v_lshrrev_b32_e32 v45, 16, v25
	s_waitcnt lgkmcnt(3)
	v_lshrrev_b32_e32 v43, 16, v21
	v_lshrrev_b32_e32 v41, 16, v22
	s_waitcnt lgkmcnt(2)
	v_lshrrev_b32_e32 v42, 16, v15
	v_lshrrev_b32_e32 v37, 16, v16
	s_waitcnt lgkmcnt(1)
	v_lshrrev_b32_e32 v38, 16, v17
	v_lshrrev_b32_e32 v39, 16, v18
	s_waitcnt lgkmcnt(0)
	v_lshrrev_b32_e32 v36, 16, v26
.LBB0_15:
	s_or_b64 exec, exec, s[2:3]
	v_add_f16_e32 v23, v20, v19
	v_add_f16_e32 v44, v47, v40
	;; [unrolled: 1-line block ×20, first 2 shown]
	v_sub_f16_e32 v20, v20, v26
	v_sub_f16_e32 v26, v47, v36
	v_add_f16_e32 v44, v36, v44
	v_add_f16_e32 v49, v36, v47
	s_movk_i32 s16, 0x3abb
	v_mul_f16_e32 v36, 0xb853, v26
	v_fma_f16 v47, v48, s16, v36
	v_add_f16_e32 v52, v19, v47
	v_mul_f16_e32 v47, 0xb853, v20
	v_fma_f16 v50, v49, s16, -v47
	v_add_f16_e32 v53, v40, v50
	v_mul_f16_e32 v50, 0xbb47, v26
	s_movk_i32 s4, 0x36a6
	v_fma_f16 v51, v48, s4, v50
	s_mov_b32 s3, 0xbb47
	v_add_f16_e32 v54, v19, v51
	v_mul_f16_e32 v51, 0x36a6, v49
	v_fma_f16 v50, v48, s4, -v50
	v_add_f16_e32 v56, v19, v50
	v_fma_f16 v50, v20, s3, v51
	s_movk_i32 s5, 0x3b47
	v_add_f16_e32 v57, v40, v50
	v_mul_f16_e32 v50, 0xbbeb, v26
	s_mov_b32 s14, 0xb08e
	v_fma_f16 v55, v20, s5, v51
	v_fma_f16 v51, v48, s14, v50
	s_mov_b32 s2, 0xbbeb
	v_add_f16_e32 v58, v19, v51
	v_mul_f16_e32 v51, 0xb08e, v49
	v_fma_f16 v50, v48, s14, -v50
	v_add_f16_e32 v60, v19, v50
	v_fma_f16 v50, v20, s2, v51
	s_movk_i32 s15, 0x3beb
	v_add_f16_e32 v61, v40, v50
	v_mul_f16_e32 v50, 0xba0c, v26
	s_mov_b32 s19, 0xb93d
	v_fma_f16 v59, v20, s15, v51
	v_fma_f16 v51, v48, s19, v50
	s_mov_b32 s18, 0xba0c
	v_add_f16_e32 v62, v19, v51
	v_mul_f16_e32 v51, 0xb93d, v49
	v_fma_f16 v50, v48, s19, -v50
	v_add_f16_e32 v64, v19, v50
	v_fma_f16 v50, v20, s18, v51
	v_mul_f16_e32 v26, 0xb482, v26
	s_mov_b32 s22, 0xbbad
	v_add_f16_e32 v65, v40, v50
	v_fma_f16 v50, v48, s22, v26
	s_movk_i32 s20, 0x3a0c
	s_mov_b32 s21, 0xb482
	v_add_f16_e32 v66, v19, v50
	v_mul_f16_e32 v50, 0xbbad, v49
	s_movk_i32 s23, 0x3482
	v_fma_f16 v63, v20, s20, v51
	v_fma_f16 v51, v20, s23, v50
	;; [unrolled: 1-line block ×3, first 2 shown]
	v_add_f16_e32 v50, v18, v24
	v_sub_f16_e32 v18, v24, v18
	v_sub_f16_e32 v24, v46, v39
	v_add_f16_e32 v67, v40, v51
	v_add_f16_e32 v51, v39, v46
	v_mul_f16_e32 v39, 0xbb47, v24
	v_fma_f16 v46, v50, s4, v39
	v_add_f16_e32 v52, v46, v52
	v_mul_f16_e32 v46, 0xbb47, v18
	v_fma_f16 v68, v51, s4, -v46
	v_add_f16_e32 v68, v68, v53
	v_mul_f16_e32 v53, 0xba0c, v24
	v_fma_f16 v69, v50, s19, v53
	v_add_f16_e32 v54, v69, v54
	v_mul_f16_e32 v69, 0xb93d, v51
	v_fma_f16 v53, v50, s19, -v53
	v_add_f16_e32 v71, v53, v56
	v_fma_f16 v53, v18, s18, v69
	v_add_f16_e32 v55, v40, v55
	v_fma_f16 v70, v18, s20, v69
	v_add_f16_e32 v69, v53, v57
	v_mul_f16_e32 v53, 0x3482, v24
	v_add_f16_e32 v70, v70, v55
	v_fma_f16 v55, v50, s22, v53
	v_add_f16_e32 v58, v55, v58
	v_mul_f16_e32 v55, 0xbbad, v51
	v_fma_f16 v53, v50, s22, -v53
	v_add_f16_e32 v60, v53, v60
	v_fma_f16 v53, v18, s23, v55
	v_add_f16_e32 v61, v53, v61
	v_mul_f16_e32 v53, 0x3beb, v24
	v_fma_f16 v56, v18, s21, v55
	v_fma_f16 v55, v50, s14, v53
	v_add_f16_e32 v62, v55, v62
	v_mul_f16_e32 v55, 0xb08e, v51
	v_fma_f16 v53, v50, s14, -v53
	v_add_f16_e32 v64, v53, v64
	v_fma_f16 v53, v18, s15, v55
	v_mul_f16_e32 v24, 0x3853, v24
	v_add_f16_e32 v65, v53, v65
	v_fma_f16 v53, v50, s16, v24
	s_mov_b32 s17, 0xb853
	v_add_f16_e32 v59, v40, v59
	s_movk_i32 s24, 0x3853
	v_add_f16_e32 v66, v53, v66
	v_mul_f16_e32 v53, 0x3abb, v51
	v_add_f16_e32 v20, v40, v20
	v_add_f16_e32 v59, v56, v59
	v_fma_f16 v56, v18, s2, v55
	v_fma_f16 v55, v18, s17, v53
	;; [unrolled: 1-line block ×3, first 2 shown]
	v_add_f16_e32 v63, v40, v63
	v_add_f16_e32 v18, v18, v20
	v_sub_f16_e32 v20, v45, v38
	v_fma_f16 v26, v48, s22, -v26
	v_add_f16_e32 v63, v56, v63
	v_add_f16_e32 v56, v17, v25
	v_sub_f16_e32 v17, v25, v17
	v_mul_f16_e32 v53, 0xbbeb, v20
	v_add_f16_e32 v26, v19, v26
	v_add_f16_e32 v67, v55, v67
	v_fma_f16 v24, v50, s16, -v24
	v_add_f16_e32 v57, v38, v45
	v_fma_f16 v25, v56, s14, v53
	v_mul_f16_e32 v55, 0xbbeb, v17
	v_mul_f16_e32 v38, 0x3482, v20
	v_add_f16_e32 v24, v24, v26
	v_add_f16_e32 v25, v25, v52
	v_fma_f16 v26, v57, s14, -v55
	v_fma_f16 v45, v56, s22, v38
	v_mul_f16_e32 v52, 0xbbad, v57
	v_add_f16_e32 v26, v26, v68
	v_add_f16_e32 v45, v45, v54
	v_fma_f16 v54, v17, s21, v52
	v_fma_f16 v52, v17, s23, v52
	v_mul_f16_e32 v68, 0x3b47, v20
	v_add_f16_e32 v52, v52, v69
	v_fma_f16 v69, v56, s4, v68
	v_add_f16_e32 v69, v69, v58
	v_mul_f16_e32 v58, 0x36a6, v57
	v_add_f16_e32 v54, v54, v70
	v_fma_f16 v38, v56, s22, -v38
	v_fma_f16 v70, v17, s3, v58
	v_fma_f16 v58, v17, s5, v58
	v_add_f16_e32 v38, v38, v71
	v_add_f16_e32 v70, v70, v59
	v_fma_f16 v59, v56, s4, -v68
	v_add_f16_e32 v71, v58, v61
	v_mul_f16_e32 v58, 0xb853, v20
	v_add_f16_e32 v68, v59, v60
	v_fma_f16 v59, v56, s16, v58
	v_add_f16_e32 v62, v59, v62
	v_mul_f16_e32 v59, 0x3abb, v57
	v_fma_f16 v58, v56, s16, -v58
	v_add_f16_e32 v64, v58, v64
	v_fma_f16 v58, v17, s17, v59
	v_mul_f16_e32 v20, 0xba0c, v20
	v_add_f16_e32 v65, v58, v65
	v_fma_f16 v58, v56, s19, v20
	v_add_f16_e32 v66, v58, v66
	v_mul_f16_e32 v58, 0xb93d, v57
	v_fma_f16 v60, v17, s24, v59
	v_fma_f16 v59, v17, s20, v58
	;; [unrolled: 1-line block ×3, first 2 shown]
	v_add_f16_e32 v63, v60, v63
	v_add_f16_e32 v17, v17, v18
	;; [unrolled: 1-line block ×3, first 2 shown]
	v_sub_f16_e32 v16, v21, v16
	v_sub_f16_e32 v18, v43, v37
	v_add_f16_e32 v67, v59, v67
	v_fma_f16 v20, v56, s19, -v20
	v_add_f16_e32 v61, v37, v43
	v_mul_f16_e32 v58, 0xba0c, v18
	v_mul_f16_e32 v59, 0xba0c, v16
	v_add_f16_e32 v20, v20, v24
	v_fma_f16 v21, v60, s19, v58
	v_fma_f16 v24, v61, s19, -v59
	v_add_f16_e32 v21, v21, v25
	v_add_f16_e32 v25, v24, v26
	v_mul_f16_e32 v24, 0x3beb, v18
	v_fma_f16 v26, v60, s14, v24
	v_mul_f16_e32 v37, 0xb08e, v61
	v_fma_f16 v24, v60, s14, -v24
	v_add_f16_e32 v26, v26, v45
	v_add_f16_e32 v45, v24, v38
	v_fma_f16 v24, v16, s15, v37
	v_fma_f16 v43, v16, s2, v37
	v_add_f16_e32 v37, v24, v52
	v_mul_f16_e32 v24, 0xb853, v18
	v_fma_f16 v38, v60, s16, v24
	v_add_f16_e32 v52, v38, v69
	v_mul_f16_e32 v38, 0x3abb, v61
	v_fma_f16 v24, v60, s16, -v24
	v_add_f16_e32 v68, v24, v68
	v_fma_f16 v24, v16, s17, v38
	v_add_f16_e32 v69, v24, v71
	v_mul_f16_e32 v24, 0xb482, v18
	v_add_f16_e32 v43, v43, v54
	v_fma_f16 v54, v16, s24, v38
	v_fma_f16 v38, v60, s22, v24
	v_add_f16_e32 v54, v54, v70
	v_add_f16_e32 v70, v38, v62
	v_mul_f16_e32 v38, 0xbbad, v61
	v_fma_f16 v24, v60, s22, -v24
	v_add_f16_e32 v72, v24, v64
	v_fma_f16 v24, v16, s21, v38
	v_mul_f16_e32 v18, 0x3b47, v18
	v_add_f16_e32 v73, v24, v65
	v_fma_f16 v24, v60, s4, v18
	v_fma_f16 v18, v60, s4, -v18
	v_fma_f16 v62, v16, s23, v38
	v_add_f16_e32 v74, v18, v20
	v_sub_f16_e32 v18, v41, v42
	v_add_f16_e32 v71, v62, v63
	v_add_f16_e32 v66, v24, v66
	v_mul_f16_e32 v24, 0x36a6, v61
	v_add_f16_e32 v64, v15, v22
	v_sub_f16_e32 v76, v22, v15
	v_mul_f16_e32 v62, 0xb482, v18
	v_fma_f16 v38, v16, s3, v24
	v_fma_f16 v16, v16, s5, v24
	v_add_f16_e32 v65, v42, v41
	v_fma_f16 v15, v64, s22, v62
	v_mul_f16_e32 v63, 0xb482, v76
	v_add_f16_e32 v75, v16, v17
	v_add_f16_e32 v24, v15, v21
	v_fma_f16 v15, v65, s22, -v63
	v_mul_f16_e32 v16, 0x3853, v18
	v_add_f16_e32 v22, v15, v25
	v_fma_f16 v15, v64, s16, v16
	v_mul_f16_e32 v17, 0x3abb, v65
	v_fma_f16 v16, v64, s16, -v16
	v_fma_f16 v20, v76, s17, v17
	v_add_f16_e32 v21, v16, v45
	v_fma_f16 v16, v76, s24, v17
	v_mul_f16_e32 v17, 0xba0c, v18
	v_mul_f16_e32 v25, 0xb93d, v65
	v_add_f16_e32 v67, v38, v67
	v_add_f16_e32 v38, v20, v43
	;; [unrolled: 1-line block ×3, first 2 shown]
	v_fma_f16 v16, v64, s19, v17
	v_fma_f16 v20, v76, s20, v25
	v_fma_f16 v17, v64, s19, -v17
	v_add_f16_e32 v37, v20, v54
	v_add_f16_e32 v20, v17, v68
	v_fma_f16 v17, v76, s18, v25
	v_mul_f16_e32 v25, 0x3b47, v18
	v_mul_f16_e32 v42, 0x36a6, v65
	v_add_f16_e32 v15, v15, v26
	v_add_f16_e32 v16, v16, v52
	;; [unrolled: 1-line block ×3, first 2 shown]
	v_fma_f16 v17, v64, s4, v25
	v_fma_f16 v26, v76, s3, v42
	v_fma_f16 v25, v64, s4, -v25
	v_add_f16_e32 v45, v26, v71
	v_add_f16_e32 v26, v25, v72
	v_fma_f16 v25, v76, s5, v42
	v_add_f16_e32 v42, v25, v73
	v_mul_f16_e32 v25, 0xbbeb, v18
	v_mul_f16_e32 v54, 0xb08e, v65
	v_fma_f16 v18, v64, s14, v25
	v_fma_f16 v43, v76, s15, v54
	v_fma_f16 v25, v64, s14, -v25
	v_fma_f16 v54, v76, s2, v54
	v_add_f16_e32 v17, v17, v70
	v_add_f16_e32 v18, v18, v66
	;; [unrolled: 1-line block ×5, first 2 shown]
	s_barrier
	s_and_saveexec_b64 s[2:3], vcc
	s_cbranch_execz .LBB0_17
; %bb.16:
	v_mul_f16_e32 v48, 0x3abb, v48
	v_mul_f16_e32 v50, 0x36a6, v50
	v_sub_f16_e32 v36, v48, v36
	v_mul_f16_e32 v56, 0xb08e, v56
	v_add_f16_e32 v19, v19, v36
	v_sub_f16_e32 v36, v50, v39
	v_mul_f16_e32 v49, 0x3abb, v49
	v_mul_f16_e32 v60, 0xb93d, v60
	v_add_f16_e32 v19, v36, v19
	v_sub_f16_e32 v36, v56, v53
	v_mul_f16_e32 v51, 0x36a6, v51
	v_mul_f16_e32 v64, 0xbbad, v64
	v_add_f16_e32 v47, v47, v49
	v_add_f16_e32 v19, v36, v19
	v_sub_f16_e32 v36, v60, v58
	v_mul_f16_e32 v57, 0xb08e, v57
	v_add_f16_e32 v40, v40, v47
	v_add_f16_e32 v46, v46, v51
	;; [unrolled: 1-line block ×3, first 2 shown]
	v_sub_f16_e32 v36, v64, v62
	s_mov_b32 s4, 0x5040100
	v_mul_f16_e32 v61, 0xb93d, v61
	v_add_f16_e32 v40, v46, v40
	v_add_f16_e32 v46, v55, v57
	;; [unrolled: 1-line block ×3, first 2 shown]
	v_lshl_add_u32 v35, v35, 2, v30
	v_perm_b32 v36, v22, v24, s4
	v_perm_b32 v39, v44, v23, s4
	v_mul_f16_e32 v65, 0xbbad, v65
	v_add_f16_e32 v40, v46, v40
	v_add_f16_e32 v46, v59, v61
	ds_write2_b32 v35, v39, v36 offset1:1
	v_perm_b32 v36, v37, v16, s4
	v_perm_b32 v39, v38, v15, s4
	v_add_f16_e32 v40, v46, v40
	v_add_f16_e32 v46, v63, v65
	ds_write2_b32 v35, v39, v36 offset0:2 offset1:3
	v_perm_b32 v36, v43, v18, s4
	v_perm_b32 v39, v45, v17, s4
	v_add_f16_e32 v40, v46, v40
	ds_write2_b32 v35, v39, v36 offset0:4 offset1:5
	v_perm_b32 v36, v42, v26, s4
	v_perm_b32 v39, v54, v25, s4
	ds_write2_b32 v35, v39, v36 offset0:6 offset1:7
	v_perm_b32 v36, v41, v21, s4
	v_perm_b32 v39, v52, v20, s4
	v_pack_b32_f16 v19, v19, v40
	ds_write2_b32 v35, v39, v36 offset0:8 offset1:9
	ds_write_b32 v35, v19 offset:40
.LBB0_17:
	s_or_b64 exec, exec, s[2:3]
	s_waitcnt lgkmcnt(0)
	s_barrier
	s_and_saveexec_b64 s[2:3], s[0:1]
	s_cbranch_execz .LBB0_19
; %bb.18:
	v_add_u32_e32 v19, 0x600, v31
	ds_read2_b32 v[23:24], v31 offset1:77
	ds_read2_b32 v[15:16], v31 offset0:154 offset1:231
	v_add_u32_e32 v17, 0x400, v31
	ds_read2_b32 v[25:26], v19 offset0:78 offset1:155
	v_add_u32_e32 v19, 0x800, v31
	ds_read2_b32 v[17:18], v17 offset0:52 offset1:129
	ds_read2_b32 v[20:21], v19 offset0:104 offset1:181
	s_waitcnt lgkmcnt(4)
	v_lshrrev_b32_e32 v44, 16, v23
	v_lshrrev_b32_e32 v22, 16, v24
	s_waitcnt lgkmcnt(3)
	v_lshrrev_b32_e32 v38, 16, v15
	v_lshrrev_b32_e32 v37, 16, v16
	;; [unrolled: 3-line block ×3, first 2 shown]
	v_lshrrev_b32_e32 v54, 16, v25
	v_lshrrev_b32_e32 v42, 16, v26
	s_waitcnt lgkmcnt(0)
	v_lshrrev_b32_e32 v52, 16, v20
	v_lshrrev_b32_e32 v41, 16, v21
.LBB0_19:
	s_or_b64 exec, exec, s[2:3]
	s_barrier
	s_and_saveexec_b64 s[2:3], s[0:1]
	s_cbranch_execz .LBB0_21
; %bb.20:
	v_mul_f16_sdwa v19, v1, v15 dst_sel:DWORD dst_unused:UNUSED_PAD src0_sel:WORD_1 src1_sel:DWORD
	v_fma_f16 v19, v1, v38, -v19
	v_mul_f16_sdwa v38, v1, v38 dst_sel:DWORD dst_unused:UNUSED_PAD src0_sel:WORD_1 src1_sel:DWORD
	v_mul_f16_sdwa v35, v3, v17 dst_sel:DWORD dst_unused:UNUSED_PAD src0_sel:WORD_1 src1_sel:DWORD
	v_fma_f16 v1, v1, v15, v38
	v_mul_f16_sdwa v38, v3, v45 dst_sel:DWORD dst_unused:UNUSED_PAD src0_sel:WORD_1 src1_sel:DWORD
	v_fma_f16 v35, v3, v45, -v35
	v_mul_f16_sdwa v40, v5, v25 dst_sel:DWORD dst_unused:UNUSED_PAD src0_sel:WORD_1 src1_sel:DWORD
	v_fma_f16 v3, v3, v17, v38
	v_mul_f16_sdwa v17, v5, v54 dst_sel:DWORD dst_unused:UNUSED_PAD src0_sel:WORD_1 src1_sel:DWORD
	v_mul_f16_sdwa v39, v7, v20 dst_sel:DWORD dst_unused:UNUSED_PAD src0_sel:WORD_1 src1_sel:DWORD
	v_fma_f16 v40, v5, v54, -v40
	v_fma_f16 v5, v5, v25, v17
	v_mul_f16_sdwa v25, v2, v37 dst_sel:DWORD dst_unused:UNUSED_PAD src0_sel:WORD_1 src1_sel:DWORD
	v_mul_f16_sdwa v38, v4, v43 dst_sel:DWORD dst_unused:UNUSED_PAD src0_sel:WORD_1 src1_sel:DWORD
	;; [unrolled: 1-line block ×4, first 2 shown]
	v_fma_f16 v39, v7, v52, -v39
	v_fma_f16 v25, v2, v16, v25
	v_fma_f16 v38, v4, v18, v38
	;; [unrolled: 1-line block ×4, first 2 shown]
	v_mul_f16_sdwa v15, v7, v52 dst_sel:DWORD dst_unused:UNUSED_PAD src0_sel:WORD_1 src1_sel:DWORD
	v_sub_f16_e32 v45, v25, v38
	v_sub_f16_e32 v49, v47, v48
	v_mul_f16_sdwa v16, v2, v16 dst_sel:DWORD dst_unused:UNUSED_PAD src0_sel:WORD_1 src1_sel:DWORD
	v_sub_f16_e32 v51, v35, v19
	v_sub_f16_e32 v52, v40, v39
	v_add_f16_e32 v45, v49, v45
	v_mul_f16_sdwa v49, v0, v22 dst_sel:DWORD dst_unused:UNUSED_PAD src0_sel:WORD_1 src1_sel:DWORD
	v_fma_f16 v2, v2, v37, -v16
	v_mul_f16_sdwa v16, v34, v21 dst_sel:DWORD dst_unused:UNUSED_PAD src0_sel:WORD_1 src1_sel:DWORD
	v_mul_f16_sdwa v18, v4, v18 dst_sel:DWORD dst_unused:UNUSED_PAD src0_sel:WORD_1 src1_sel:DWORD
	v_add_f16_e32 v51, v52, v51
	v_add_f16_e32 v52, v39, v19
	v_sub_f16_e32 v36, v19, v35
	v_sub_f16_e32 v46, v39, v40
	v_fma_f16 v7, v7, v20, v15
	s_mov_b32 s0, 0xbb9c
	v_sub_f16_e32 v17, v3, v5
	v_fma_f16 v49, v0, v24, v49
	v_add_f16_e32 v50, v48, v38
	v_fma_f16 v16, v34, v41, -v16
	s_movk_i32 s5, 0x3b9c
	v_fma_f16 v4, v4, v43, -v18
	v_mul_f16_sdwa v18, v6, v26 dst_sel:DWORD dst_unused:UNUSED_PAD src0_sel:WORD_1 src1_sel:DWORD
	v_fma_f16 v52, v52, -0.5, v44
	v_sub_f16_e32 v54, v38, v25
	v_sub_f16_e32 v55, v48, v47
	v_add_f16_e32 v36, v46, v36
	v_add_f16_e32 v46, v40, v35
	v_sub_f16_e32 v15, v1, v7
	s_mov_b32 s1, 0xb8b4
	v_fma_f16 v50, v50, -0.5, v49
	v_sub_f16_e32 v21, v2, v16
	v_fma_f16 v6, v6, v42, -v18
	s_movk_i32 s14, 0x38b4
	v_mul_f16_sdwa v24, v0, v24 dst_sel:DWORD dst_unused:UNUSED_PAD src0_sel:WORD_1 src1_sel:DWORD
	v_fma_f16 v53, v17, s5, v52
	v_add_f16_e32 v54, v55, v54
	v_add_f16_e32 v55, v47, v25
	v_fma_f16 v52, v17, s0, v52
	v_fma_f16 v46, v46, -0.5, v44
	s_movk_i32 s4, 0x34f2
	v_fma_f16 v34, v21, s5, v50
	v_sub_f16_e32 v18, v4, v6
	v_fma_f16 v0, v0, v22, -v24
	v_add_f16_e32 v22, v6, v4
	v_fma_f16 v53, v15, s1, v53
	v_fma_f16 v55, v55, -0.5, v49
	v_sub_f16_e32 v57, v4, v2
	v_sub_f16_e32 v58, v6, v16
	v_fma_f16 v52, v15, s14, v52
	v_fma_f16 v20, v15, s0, v46
	;; [unrolled: 1-line block ×3, first 2 shown]
	v_sub_f16_e32 v34, v2, v4
	v_sub_f16_e32 v37, v16, v6
	v_fma_f16 v22, v22, -0.5, v0
	v_sub_f16_e32 v24, v25, v47
	v_fma_f16 v53, v51, s4, v53
	v_fma_f16 v56, v18, s0, v55
	v_add_f16_e32 v57, v58, v57
	v_add_f16_e32 v58, v16, v2
	v_fma_f16 v51, v51, s4, v52
	v_fma_f16 v52, v18, s5, v55
	;; [unrolled: 1-line block ×4, first 2 shown]
	v_add_f16_e32 v34, v37, v34
	v_fma_f16 v37, v24, s0, v22
	v_sub_f16_e32 v41, v38, v48
	v_fma_f16 v56, v21, s14, v56
	v_fma_f16 v58, v58, -0.5, v0
	v_fma_f16 v52, v21, s1, v52
	v_fma_f16 v15, v17, s14, v15
	;; [unrolled: 1-line block ×10, first 2 shown]
	v_add_f16_e32 v0, v2, v0
	v_fma_f16 v37, v34, s4, v37
	v_fma_f16 v59, v24, s1, v59
	;; [unrolled: 1-line block ×4, first 2 shown]
	v_add_f16_e32 v24, v19, v44
	v_add_f16_e32 v0, v4, v0
	v_fma_f16 v20, v36, s4, v20
	v_mul_f16_e32 v42, 0xba79, v37
	v_fma_f16 v15, v36, s4, v15
	v_fma_f16 v18, v34, s4, v18
	v_add_f16_e32 v24, v35, v24
	v_add_f16_e32 v0, v6, v0
	v_sub_f16_e32 v4, v1, v3
	v_sub_f16_e32 v6, v7, v5
	;; [unrolled: 1-line block ×3, first 2 shown]
	v_mul_f16_e32 v35, 0xb8b4, v37
	v_sub_f16_e32 v36, v3, v1
	v_sub_f16_e32 v37, v5, v7
	v_add_f16_e32 v4, v6, v4
	v_add_f16_e32 v6, v5, v3
	;; [unrolled: 1-line block ×6, first 2 shown]
	v_fma_f16 v6, v6, -0.5, v23
	v_sub_f16_e32 v16, v19, v39
	v_add_f16_e32 v1, v3, v1
	v_add_f16_e32 v3, v25, v49
	;; [unrolled: 1-line block ×3, first 2 shown]
	v_fma_f16 v19, v16, s5, v6
	v_fma_f16 v37, v37, -0.5, v23
	v_fma_f16 v6, v16, s0, v6
	v_add_f16_e32 v3, v38, v3
	v_add_f16_e32 v24, v39, v24
	v_fma_f16 v19, v34, s14, v19
	v_fma_f16 v39, v34, s0, v37
	;; [unrolled: 1-line block ×4, first 2 shown]
	v_add_f16_e32 v1, v5, v1
	v_add_f16_e32 v3, v48, v3
	v_fma_f16 v59, v57, s4, v59
	v_fma_f16 v54, v57, s4, v54
	;; [unrolled: 1-line block ×3, first 2 shown]
	s_movk_i32 s17, 0x3a79
	v_mul_f16_e32 v21, 0x3a79, v18
	v_fma_f16 v19, v4, s4, v19
	v_fma_f16 v39, v16, s14, v39
	;; [unrolled: 1-line block ×4, first 2 shown]
	v_mul_f16_e32 v6, 0xb8b4, v18
	v_add_f16_e32 v1, v7, v1
	v_add_f16_e32 v3, v47, v3
	v_fma_f16 v26, v45, s4, v26
	s_mov_b32 s16, 0xb4f2
	v_mul_f16_e32 v60, 0xb4f2, v59
	v_mul_f16_e32 v55, 0x34f2, v54
	v_fma_f16 v21, v17, s14, v21
	v_fma_f16 v39, v36, s4, v39
	v_mul_f16_e32 v40, 0xbb9c, v59
	v_fma_f16 v36, v36, s4, v37
	v_mul_f16_e32 v37, 0xbb9c, v54
	v_fma_f16 v6, v17, s17, v6
	v_sub_f16_e32 v5, v1, v3
	v_add_f16_e32 v1, v1, v3
	v_mul_u32_u24_e32 v3, 0x6e, v32
	s_mov_b32 s15, 0xba79
	v_fma_f16 v42, v26, s14, v42
	v_fma_f16 v60, v56, s5, v60
	;; [unrolled: 1-line block ×3, first 2 shown]
	v_sub_f16_e32 v22, v15, v21
	v_sub_f16_e32 v2, v24, v0
	v_fma_f16 v40, v56, s16, v40
	v_fma_f16 v37, v52, s4, v37
	v_sub_f16_e32 v16, v4, v6
	v_add_f16_e32 v15, v15, v21
	v_add_f16_e32 v0, v24, v0
	;; [unrolled: 1-line block ×3, first 2 shown]
	v_add_u32_e32 v3, v3, v33
	v_sub_f16_e32 v43, v20, v42
	v_fma_f16 v26, v26, s15, v35
	v_add_f16_e32 v7, v20, v42
	v_add_f16_e32 v17, v53, v60
	;; [unrolled: 1-line block ×5, first 2 shown]
	v_lshl_add_u32 v3, v3, 2, v30
	v_pack_b32_f16 v0, v1, v0
	v_pack_b32_f16 v1, v4, v15
	v_sub_f16_e32 v35, v19, v26
	v_add_f16_e32 v19, v19, v26
	ds_write2_b32 v3, v0, v1 offset1:11
	v_pack_b32_f16 v0, v21, v18
	v_pack_b32_f16 v1, v20, v17
	v_sub_f16_e32 v57, v51, v55
	v_sub_f16_e32 v44, v36, v37
	ds_write2_b32 v3, v0, v1 offset0:22 offset1:33
	v_pack_b32_f16 v0, v19, v7
	v_pack_b32_f16 v1, v5, v2
	v_sub_f16_e32 v61, v53, v60
	v_sub_f16_e32 v41, v39, v40
	ds_write2_b32 v3, v0, v1 offset0:44 offset1:55
	v_pack_b32_f16 v0, v16, v22
	v_pack_b32_f16 v1, v44, v57
	ds_write2_b32 v3, v0, v1 offset0:66 offset1:77
	v_pack_b32_f16 v0, v41, v61
	v_pack_b32_f16 v1, v35, v43
	ds_write2_b32 v3, v0, v1 offset0:88 offset1:99
.LBB0_21:
	s_or_b64 exec, exec, s[2:3]
	s_waitcnt lgkmcnt(0)
	s_barrier
	ds_read2_b32 v[0:1], v31 offset1:110
	v_add_u32_e32 v2, 0x200, v31
	ds_read2_b32 v[2:3], v2 offset0:92 offset1:202
	v_add_u32_e32 v4, 0x600, v31
	ds_read2_b32 v[4:5], v4 offset0:56 offset1:166
	s_waitcnt lgkmcnt(2)
	v_lshrrev_b32_e32 v6, 16, v1
	ds_read_b32 v7, v31 offset:2640
	v_mul_f16_sdwa v20, v8, v6 dst_sel:DWORD dst_unused:UNUSED_PAD src0_sel:WORD_1 src1_sel:DWORD
	s_waitcnt lgkmcnt(2)
	v_lshrrev_b32_e32 v15, 16, v2
	v_fma_f16 v20, v8, v1, v20
	v_mul_f16_sdwa v1, v8, v1 dst_sel:DWORD dst_unused:UNUSED_PAD src0_sel:WORD_1 src1_sel:DWORD
	v_fma_f16 v1, v8, v6, -v1
	v_mul_f16_sdwa v6, v9, v15 dst_sel:DWORD dst_unused:UNUSED_PAD src0_sel:WORD_1 src1_sel:DWORD
	v_lshrrev_b32_e32 v16, 16, v3
	s_waitcnt lgkmcnt(1)
	v_lshrrev_b32_e32 v17, 16, v4
	v_fma_f16 v6, v9, v2, v6
	v_mul_f16_sdwa v2, v9, v2 dst_sel:DWORD dst_unused:UNUSED_PAD src0_sel:WORD_1 src1_sel:DWORD
	v_fma_f16 v2, v9, v15, -v2
	v_mul_f16_sdwa v8, v10, v16 dst_sel:DWORD dst_unused:UNUSED_PAD src0_sel:WORD_1 src1_sel:DWORD
	v_mul_f16_sdwa v9, v11, v17 dst_sel:DWORD dst_unused:UNUSED_PAD src0_sel:WORD_1 src1_sel:DWORD
	v_lshrrev_b32_e32 v18, 16, v5
	s_waitcnt lgkmcnt(0)
	v_lshrrev_b32_e32 v19, 16, v7
	v_fma_f16 v8, v10, v3, v8
	v_mul_f16_sdwa v3, v10, v3 dst_sel:DWORD dst_unused:UNUSED_PAD src0_sel:WORD_1 src1_sel:DWORD
	v_fma_f16 v9, v11, v4, v9
	v_mul_f16_sdwa v4, v11, v4 dst_sel:DWORD dst_unused:UNUSED_PAD src0_sel:WORD_1 src1_sel:DWORD
	v_fma_f16 v3, v10, v16, -v3
	v_fma_f16 v4, v11, v17, -v4
	v_mul_f16_sdwa v10, v13, v18 dst_sel:DWORD dst_unused:UNUSED_PAD src0_sel:WORD_1 src1_sel:DWORD
	v_mul_f16_sdwa v11, v14, v19 dst_sel:DWORD dst_unused:UNUSED_PAD src0_sel:WORD_1 src1_sel:DWORD
	v_fma_f16 v10, v13, v5, v10
	v_mul_f16_sdwa v5, v13, v5 dst_sel:DWORD dst_unused:UNUSED_PAD src0_sel:WORD_1 src1_sel:DWORD
	v_fma_f16 v11, v14, v7, v11
	v_mul_f16_sdwa v7, v14, v7 dst_sel:DWORD dst_unused:UNUSED_PAD src0_sel:WORD_1 src1_sel:DWORD
	v_fma_f16 v5, v13, v18, -v5
	v_fma_f16 v7, v14, v19, -v7
	v_add_f16_e32 v13, v20, v11
	v_add_f16_e32 v14, v1, v7
	v_sub_f16_e32 v1, v1, v7
	v_add_f16_e32 v7, v6, v10
	v_add_f16_e32 v15, v2, v5
	v_sub_f16_e32 v6, v6, v10
	v_sub_f16_e32 v2, v2, v5
	v_add_f16_e32 v5, v8, v9
	v_add_f16_e32 v10, v3, v4
	v_sub_f16_e32 v8, v9, v8
	v_sub_f16_e32 v11, v20, v11
	;; [unrolled: 1-line block ×3, first 2 shown]
	v_add_f16_e32 v4, v7, v13
	v_add_f16_e32 v9, v15, v14
	v_sub_f16_e32 v16, v7, v13
	v_sub_f16_e32 v17, v15, v14
	;; [unrolled: 1-line block ×4, first 2 shown]
	v_add_f16_e32 v18, v8, v6
	v_sub_f16_e32 v7, v5, v7
	v_sub_f16_e32 v15, v10, v15
	;; [unrolled: 1-line block ×5, first 2 shown]
	v_add_f16_e32 v4, v5, v4
	v_add_f16_e32 v5, v10, v9
	;; [unrolled: 1-line block ×3, first 2 shown]
	v_mul_f16_e32 v11, 0x3a52, v13
	v_mul_f16_e32 v13, 0x3a52, v14
	s_movk_i32 s0, 0x2b26
	v_mul_f16_e32 v14, 0x2b26, v7
	v_mul_f16_e32 v18, 0x2b26, v15
	v_fma_f16 v7, v7, s0, v11
	v_fma_f16 v15, v15, s0, v13
	s_movk_i32 s0, 0x39e0
	v_add_f16_e32 v19, v3, v2
	v_sub_f16_e32 v21, v3, v2
	v_fma_f16 v14, v16, s0, -v14
	v_fma_f16 v18, v17, s0, -v18
	s_mov_b32 s0, 0xb9e0
	v_sub_f16_e32 v3, v1, v3
	v_sub_f16_e32 v2, v2, v1
	v_add_f16_e32 v1, v19, v1
	v_mul_f16_e32 v19, 0x3846, v20
	v_mul_f16_e32 v20, 0x3846, v21
	v_fma_f16 v11, v16, s0, -v11
	v_fma_f16 v13, v17, s0, -v13
	s_mov_b32 s0, 0xb574
	v_add_f16_e32 v10, v0, v4
	v_add_f16_sdwa v0, v0, v5 dst_sel:DWORD dst_unused:UNUSED_PAD src0_sel:WORD_1 src1_sel:DWORD
	v_mul_f16_e32 v21, 0xbb00, v6
	v_mul_f16_e32 v22, 0xbb00, v2
	s_mov_b32 s2, 0xbcab
	v_fma_f16 v16, v8, s0, v19
	v_fma_f16 v17, v3, s0, v20
	s_movk_i32 s0, 0x3574
	s_mov_b32 s1, 0xbb00
	v_fma_f16 v4, v4, s2, v10
	v_fma_f16 v5, v5, s2, v0
	v_fma_f16 v8, v8, s0, -v21
	v_fma_f16 v3, v3, s0, -v22
	s_mov_b32 s0, 0xb70e
	v_fma_f16 v6, v6, s1, -v19
	v_fma_f16 v2, v2, s1, -v20
	v_add_f16_e32 v7, v7, v4
	v_add_f16_e32 v15, v15, v5
	;; [unrolled: 1-line block ×6, first 2 shown]
	v_fma_f16 v11, v9, s0, v16
	v_fma_f16 v13, v1, s0, v17
	;; [unrolled: 1-line block ×6, first 2 shown]
	v_add_f16_e32 v3, v13, v7
	v_sub_f16_e32 v9, v15, v11
	v_add_f16_e32 v16, v1, v4
	v_sub_f16_e32 v17, v5, v8
	v_sub_f16_e32 v19, v14, v2
	v_add_f16_e32 v20, v6, v18
	v_pack_b32_f16 v0, v10, v0
	v_pack_b32_f16 v3, v3, v9
	v_add_f16_e32 v2, v2, v14
	v_sub_f16_e32 v6, v18, v6
	v_sub_f16_e32 v1, v4, v1
	v_add_f16_e32 v4, v8, v5
	ds_write2_b32 v29, v0, v3 offset1:110
	v_pack_b32_f16 v0, v16, v17
	v_pack_b32_f16 v3, v19, v20
	v_add_u32_e32 v8, 0x200, v29
	v_sub_f16_e32 v5, v7, v13
	v_add_f16_e32 v11, v11, v15
	ds_write2_b32 v8, v0, v3 offset0:92 offset1:202
	v_pack_b32_f16 v0, v2, v6
	v_pack_b32_f16 v1, v1, v4
	v_add_u32_e32 v7, 0x600, v29
	ds_write2_b32 v7, v0, v1 offset0:56 offset1:166
	v_pack_b32_f16 v0, v5, v11
	ds_write_b32 v29, v0 offset:2640
	s_waitcnt lgkmcnt(0)
	s_barrier
	s_and_b64 exec, exec, vcc
	s_cbranch_execz .LBB0_23
; %bb.22:
	global_load_dword v11, v27, s[6:7]
	global_load_dword v10, v27, s[6:7] offset:280
	ds_read_b32 v18, v29
	v_mad_u64_u32 v[2:3], s[0:1], s10, v12, 0
	v_mad_u64_u32 v[4:5], s[0:1], s8, v28, 0
	v_mov_b32_e32 v6, 0x7c00
	s_mov_b32 s14, 0xe6bb82fe
	v_mad_u64_u32 v[19:20], s[0:1], s11, v12, v[3:4]
	s_waitcnt lgkmcnt(0)
	v_lshrrev_b32_e32 v3, 16, v18
	v_mad_u64_u32 v[20:21], s[0:1], s9, v28, v[5:6]
	s_mov_b32 s15, 0x3f554725
	s_movk_i32 s18, 0x1ff
	ds_read2_b32 v[0:1], v29 offset0:70 offset1:140
	global_load_dword v13, v27, s[6:7] offset:560
	global_load_dword v14, v27, s[6:7] offset:840
	;; [unrolled: 1-line block ×6, first 2 shown]
	s_movk_i32 s17, 0xffe
	v_mov_b32_e32 v5, v20
	s_movk_i32 s16, 0x40f
	s_waitcnt lgkmcnt(0)
	v_lshrrev_b32_e32 v23, 16, v0
	s_mov_b32 s10, 0x8000
	s_waitcnt vmcnt(7)
	v_mul_f16_sdwa v12, v3, v11 dst_sel:DWORD dst_unused:UNUSED_PAD src0_sel:DWORD src1_sel:WORD_1
	v_fma_f16 v12, v18, v11, v12
	v_mul_f16_sdwa v18, v18, v11 dst_sel:DWORD dst_unused:UNUSED_PAD src0_sel:DWORD src1_sel:WORD_1
	v_cvt_f32_f16_e32 v12, v12
	v_fma_f16 v3, v11, v3, -v18
	v_cvt_f32_f16_e32 v3, v3
	v_cvt_f64_f32_e32 v[11:12], v12
	v_cvt_f64_f32_e32 v[21:22], v3
	s_waitcnt vmcnt(6)
	v_mul_f16_sdwa v3, v23, v10 dst_sel:DWORD dst_unused:UNUSED_PAD src0_sel:DWORD src1_sel:WORD_1
	v_mul_f64 v[11:12], v[11:12], s[14:15]
	v_fma_f16 v3, v0, v10, v3
	v_mul_f64 v[21:22], v[21:22], s[14:15]
	v_cvt_f32_f16_e32 v18, v3
	v_mov_b32_e32 v3, v19
	v_lshlrev_b64 v[2:3], 2, v[2:3]
	v_mul_f16_sdwa v0, v0, v10 dst_sel:DWORD dst_unused:UNUSED_PAD src0_sel:DWORD src1_sel:WORD_1
	v_cvt_f64_f32_e32 v[18:19], v18
	v_and_or_b32 v11, v12, s18, v11
	v_cmp_ne_u32_e32 vcc, 0, v11
	v_and_or_b32 v21, v22, s18, v21
	v_lshrrev_b32_e32 v20, 8, v12
	v_bfe_u32 v24, v12, 20, 11
	v_cndmask_b32_e64 v11, 0, 1, vcc
	v_cmp_ne_u32_e32 vcc, 0, v21
	v_lshrrev_b32_e32 v25, 8, v22
	v_bfe_u32 v26, v22, 20, 11
	v_sub_u32_e32 v28, 0x3f1, v24
	v_cndmask_b32_e64 v21, 0, 1, vcc
	v_and_or_b32 v11, v20, s17, v11
	v_sub_u32_e32 v30, 0x3f1, v26
	v_med3_i32 v20, v28, 0, 13
	v_and_or_b32 v21, v25, s17, v21
	v_or_b32_e32 v28, 0x1000, v11
	v_add_u32_e32 v24, 0xfffffc10, v24
	v_med3_i32 v25, v30, 0, 13
	v_cmp_ne_u32_e32 vcc, 0, v11
	v_or_b32_e32 v31, 0x1000, v21
	v_lshrrev_b32_e32 v33, v20, v28
	v_add_u32_e32 v26, 0xfffffc10, v26
	v_lshl_or_b32 v30, v24, 12, v11
	v_cndmask_b32_e64 v11, 0, 1, vcc
	v_cmp_ne_u32_e32 vcc, 0, v21
	v_lshrrev_b32_e32 v34, v25, v31
	v_lshlrev_b32_e32 v20, v20, v33
	v_lshl_or_b32 v32, v26, 12, v21
	v_cndmask_b32_e64 v21, 0, 1, vcc
	v_lshlrev_b32_e32 v25, v25, v34
	v_cmp_ne_u32_e32 vcc, v20, v28
	v_cndmask_b32_e64 v20, 0, 1, vcc
	v_cmp_ne_u32_e32 vcc, v25, v31
	v_cndmask_b32_e64 v25, 0, 1, vcc
	v_or_b32_e32 v20, v33, v20
	v_cmp_gt_i32_e32 vcc, 1, v24
	v_cndmask_b32_e32 v20, v30, v20, vcc
	v_or_b32_e32 v25, v34, v25
	v_cmp_gt_i32_e32 vcc, 1, v26
	v_and_b32_e32 v28, 7, v20
	v_cndmask_b32_e32 v25, v32, v25, vcc
	v_cmp_lt_i32_e32 vcc, 5, v28
	v_cmp_eq_u32_e64 s[0:1], 3, v28
	v_lshrrev_b32_e32 v20, 2, v20
	v_and_b32_e32 v30, 7, v25
	s_or_b64 vcc, s[0:1], vcc
	v_cmp_lt_i32_e64 s[2:3], 5, v30
	v_cmp_eq_u32_e64 s[4:5], 3, v30
	v_addc_co_u32_e32 v20, vcc, 0, v20, vcc
	v_lshrrev_b32_e32 v25, 2, v25
	s_or_b64 vcc, s[4:5], s[2:3]
	v_addc_co_u32_e32 v25, vcc, 0, v25, vcc
	v_cmp_gt_i32_e32 vcc, 31, v24
	v_cndmask_b32_e32 v20, v6, v20, vcc
	v_cmp_gt_i32_e32 vcc, 31, v26
	v_lshl_or_b32 v11, v11, 9, v6
	v_cndmask_b32_e32 v25, v6, v25, vcc
	v_cmp_eq_u32_e32 vcc, s16, v24
	v_lshrrev_b32_e32 v12, 16, v12
	v_lshl_or_b32 v21, v21, 9, v6
	v_cndmask_b32_e32 v11, v20, v11, vcc
	v_cmp_eq_u32_e32 vcc, s16, v26
	v_lshrrev_b32_e32 v22, 16, v22
	v_cndmask_b32_e32 v20, v25, v21, vcc
	v_and_or_b32 v11, v12, s10, v11
	v_and_or_b32 v12, v22, s10, v20
	v_and_b32_e32 v11, 0xffff, v11
	v_lshl_or_b32 v20, v12, 16, v11
	v_mul_f64 v[11:12], v[18:19], s[14:15]
	v_mov_b32_e32 v21, s13
	v_add_co_u32_e32 v18, vcc, s12, v2
	v_addc_co_u32_e32 v19, vcc, v21, v3, vcc
	v_lshlrev_b64 v[2:3], 2, v[4:5]
	v_fma_f16 v0, v10, v23, -v0
	v_add_co_u32_e32 v2, vcc, v18, v2
	v_addc_co_u32_e32 v3, vcc, v19, v3, vcc
	v_and_or_b32 v4, v12, s18, v11
	v_cmp_ne_u32_e32 vcc, 0, v4
	v_cndmask_b32_e64 v4, 0, 1, vcc
	v_lshrrev_b32_e32 v5, 8, v12
	v_and_or_b32 v11, v5, s17, v4
	v_bfe_u32 v5, v12, 20, 11
	v_sub_u32_e32 v18, 0x3f1, v5
	v_or_b32_e32 v4, 0x1000, v11
	v_med3_i32 v18, v18, 0, 13
	v_lshrrev_b32_e32 v19, v18, v4
	v_lshlrev_b32_e32 v18, v18, v19
	v_cmp_ne_u32_e32 vcc, v18, v4
	v_cndmask_b32_e64 v4, 0, 1, vcc
	v_add_u32_e32 v18, 0xfffffc10, v5
	v_cvt_f32_f16_e32 v0, v0
	v_or_b32_e32 v4, v19, v4
	v_lshl_or_b32 v5, v18, 12, v11
	v_cmp_gt_i32_e32 vcc, 1, v18
	v_cndmask_b32_e32 v4, v5, v4, vcc
	v_and_b32_e32 v5, 7, v4
	v_cmp_lt_i32_e32 vcc, 5, v5
	v_cmp_eq_u32_e64 s[0:1], 3, v5
	v_lshrrev_b32_e32 v10, 2, v4
	v_cvt_f64_f32_e32 v[4:5], v0
	s_or_b64 vcc, s[0:1], vcc
	v_addc_co_u32_e32 v0, vcc, 0, v10, vcc
	v_mul_f64 v[4:5], v[4:5], s[14:15]
	v_cmp_gt_i32_e32 vcc, 31, v18
	v_cndmask_b32_e32 v0, v6, v0, vcc
	v_cmp_ne_u32_e32 vcc, 0, v11
	v_cndmask_b32_e64 v10, 0, 1, vcc
	v_lshl_or_b32 v10, v10, 9, v6
	v_cmp_eq_u32_e32 vcc, s16, v18
	v_cndmask_b32_e32 v0, v0, v10, vcc
	v_and_or_b32 v4, v5, s18, v4
	v_lshrrev_b32_e32 v10, 16, v12
	v_cmp_ne_u32_e32 vcc, 0, v4
	v_and_or_b32 v0, v10, s10, v0
	v_cndmask_b32_e64 v4, 0, 1, vcc
	v_lshrrev_b32_e32 v10, 8, v5
	v_bfe_u32 v11, v5, 20, 11
	v_and_or_b32 v4, v10, s17, v4
	v_sub_u32_e32 v12, 0x3f1, v11
	v_or_b32_e32 v10, 0x1000, v4
	v_med3_i32 v12, v12, 0, 13
	v_lshrrev_b32_e32 v18, v12, v10
	v_lshlrev_b32_e32 v12, v12, v18
	v_cmp_ne_u32_e32 vcc, v12, v10
	v_cndmask_b32_e64 v10, 0, 1, vcc
	v_add_u32_e32 v11, 0xfffffc10, v11
	v_or_b32_e32 v10, v18, v10
	v_lshl_or_b32 v12, v11, 12, v4
	v_cmp_gt_i32_e32 vcc, 1, v11
	v_cndmask_b32_e32 v10, v12, v10, vcc
	v_and_b32_e32 v12, 7, v10
	v_cmp_lt_i32_e32 vcc, 5, v12
	v_cmp_eq_u32_e64 s[0:1], 3, v12
	v_lshrrev_b32_e32 v10, 2, v10
	s_or_b64 vcc, s[0:1], vcc
	v_addc_co_u32_e32 v10, vcc, 0, v10, vcc
	v_cmp_gt_i32_e32 vcc, 31, v11
	v_cndmask_b32_e32 v10, v6, v10, vcc
	v_cmp_ne_u32_e32 vcc, 0, v4
	v_cndmask_b32_e64 v4, 0, 1, vcc
	v_lshl_or_b32 v4, v4, 9, v6
	v_cmp_eq_u32_e32 vcc, s16, v11
	v_cndmask_b32_e32 v4, v10, v4, vcc
	v_lshrrev_b32_e32 v10, 16, v1
	s_waitcnt vmcnt(5)
	v_mul_f16_sdwa v11, v10, v13 dst_sel:DWORD dst_unused:UNUSED_PAD src0_sel:DWORD src1_sel:WORD_1
	v_fma_f16 v11, v1, v13, v11
	v_cvt_f32_f16_e32 v11, v11
	v_lshrrev_b32_e32 v5, 16, v5
	v_and_or_b32 v4, v5, s10, v4
	v_and_b32_e32 v0, 0xffff, v0
	v_lshl_or_b32 v0, v4, 16, v0
	v_cvt_f64_f32_e32 v[4:5], v11
	s_mul_i32 s0, s9, 0x118
	s_mul_hi_u32 s2, s8, 0x118
	s_add_i32 s2, s2, s0
	v_mul_f64 v[4:5], v[4:5], s[14:15]
	s_mul_i32 s3, s8, 0x118
	global_store_dword v[2:3], v20, off
	v_mov_b32_e32 v11, s2
	v_add_co_u32_e32 v2, vcc, s3, v2
	v_addc_co_u32_e32 v3, vcc, v3, v11, vcc
	global_store_dword v[2:3], v0, off
	v_and_or_b32 v0, v5, s18, v4
	v_cmp_ne_u32_e32 vcc, 0, v0
	v_cndmask_b32_e64 v0, 0, 1, vcc
	v_lshrrev_b32_e32 v4, 8, v5
	v_bfe_u32 v11, v5, 20, 11
	v_and_or_b32 v4, v4, s17, v0
	v_sub_u32_e32 v12, 0x3f1, v11
	v_or_b32_e32 v0, 0x1000, v4
	v_med3_i32 v12, v12, 0, 13
	v_lshrrev_b32_e32 v18, v12, v0
	v_mul_f16_sdwa v1, v1, v13 dst_sel:DWORD dst_unused:UNUSED_PAD src0_sel:DWORD src1_sel:WORD_1
	v_lshlrev_b32_e32 v12, v12, v18
	v_fma_f16 v1, v13, v10, -v1
	v_cmp_ne_u32_e32 vcc, v12, v0
	v_cvt_f32_f16_e32 v1, v1
	v_cndmask_b32_e64 v0, 0, 1, vcc
	v_add_u32_e32 v11, 0xfffffc10, v11
	v_or_b32_e32 v0, v18, v0
	v_lshl_or_b32 v12, v11, 12, v4
	v_cmp_gt_i32_e32 vcc, 1, v11
	v_cndmask_b32_e32 v0, v12, v0, vcc
	v_and_b32_e32 v12, 7, v0
	v_lshrrev_b32_e32 v10, 2, v0
	v_cvt_f64_f32_e32 v[0:1], v1
	v_cmp_lt_i32_e32 vcc, 5, v12
	v_cmp_eq_u32_e64 s[0:1], 3, v12
	s_or_b64 vcc, s[0:1], vcc
	v_mul_f64 v[0:1], v[0:1], s[14:15]
	v_addc_co_u32_e32 v10, vcc, 0, v10, vcc
	v_cmp_gt_i32_e32 vcc, 31, v11
	v_cndmask_b32_e32 v10, v6, v10, vcc
	v_cmp_ne_u32_e32 vcc, 0, v4
	v_cndmask_b32_e64 v4, 0, 1, vcc
	v_lshl_or_b32 v4, v4, 9, v6
	v_cmp_eq_u32_e32 vcc, s16, v11
	v_and_or_b32 v0, v1, s18, v0
	v_cndmask_b32_e32 v4, v10, v4, vcc
	v_lshrrev_b32_e32 v5, 16, v5
	v_cmp_ne_u32_e32 vcc, 0, v0
	v_and_or_b32 v12, v5, s10, v4
	v_cndmask_b32_e64 v0, 0, 1, vcc
	v_lshrrev_b32_e32 v4, 8, v1
	v_bfe_u32 v5, v1, 20, 11
	v_and_or_b32 v0, v4, s17, v0
	v_sub_u32_e32 v10, 0x3f1, v5
	v_or_b32_e32 v4, 0x1000, v0
	v_med3_i32 v10, v10, 0, 13
	v_lshrrev_b32_e32 v11, v10, v4
	v_lshlrev_b32_e32 v10, v10, v11
	v_cmp_ne_u32_e32 vcc, v10, v4
	v_cndmask_b32_e64 v4, 0, 1, vcc
	v_add_u32_e32 v10, 0xfffffc10, v5
	v_or_b32_e32 v4, v11, v4
	v_lshl_or_b32 v5, v10, 12, v0
	v_cmp_gt_i32_e32 vcc, 1, v10
	v_cndmask_b32_e32 v4, v5, v4, vcc
	v_and_b32_e32 v5, 7, v4
	v_cmp_lt_i32_e32 vcc, 5, v5
	v_cmp_eq_u32_e64 s[0:1], 3, v5
	v_lshrrev_b32_e32 v4, 2, v4
	s_or_b64 vcc, s[0:1], vcc
	v_addc_co_u32_e32 v11, vcc, 0, v4, vcc
	ds_read2_b32 v[4:5], v8 offset0:82 offset1:152
	v_cmp_gt_i32_e32 vcc, 31, v10
	v_cndmask_b32_e32 v8, v6, v11, vcc
	v_cmp_ne_u32_e32 vcc, 0, v0
	v_cndmask_b32_e64 v0, 0, 1, vcc
	s_waitcnt lgkmcnt(0)
	v_lshrrev_b32_e32 v13, 16, v4
	s_waitcnt vmcnt(6)
	v_mul_f16_sdwa v11, v13, v14 dst_sel:DWORD dst_unused:UNUSED_PAD src0_sel:DWORD src1_sel:WORD_1
	v_fma_f16 v11, v4, v14, v11
	v_cvt_f32_f16_e32 v11, v11
	v_cmp_eq_u32_e32 vcc, s16, v10
	v_lshl_or_b32 v0, v0, 9, v6
	v_cndmask_b32_e32 v0, v8, v0, vcc
	v_cvt_f64_f32_e32 v[10:11], v11
	v_lshrrev_b32_e32 v1, 16, v1
	v_and_or_b32 v8, v1, s10, v0
	v_add_co_u32_e32 v2, vcc, s3, v2
	v_mul_f64 v[0:1], v[10:11], s[14:15]
	v_mov_b32_e32 v10, s2
	v_and_b32_e32 v12, 0xffff, v12
	v_addc_co_u32_e32 v3, vcc, v3, v10, vcc
	v_lshl_or_b32 v8, v8, 16, v12
	global_store_dword v[2:3], v8, off
	v_mul_f16_sdwa v4, v4, v14 dst_sel:DWORD dst_unused:UNUSED_PAD src0_sel:DWORD src1_sel:WORD_1
	v_and_or_b32 v0, v1, s18, v0
	v_cmp_ne_u32_e32 vcc, 0, v0
	v_cndmask_b32_e64 v0, 0, 1, vcc
	v_lshrrev_b32_e32 v8, 8, v1
	v_bfe_u32 v10, v1, 20, 11
	v_and_or_b32 v0, v8, s17, v0
	v_sub_u32_e32 v11, 0x3f1, v10
	v_or_b32_e32 v8, 0x1000, v0
	v_med3_i32 v11, v11, 0, 13
	v_lshrrev_b32_e32 v12, v11, v8
	v_lshlrev_b32_e32 v11, v11, v12
	v_cmp_ne_u32_e32 vcc, v11, v8
	v_cndmask_b32_e64 v8, 0, 1, vcc
	v_fma_f16 v4, v14, v13, -v4
	v_or_b32_e32 v8, v12, v8
	v_add_u32_e32 v12, 0xfffffc10, v10
	v_cvt_f32_f16_e32 v4, v4
	v_lshl_or_b32 v10, v12, 12, v0
	v_cmp_gt_i32_e32 vcc, 1, v12
	v_cndmask_b32_e32 v8, v10, v8, vcc
	v_and_b32_e32 v10, 7, v8
	v_cmp_lt_i32_e32 vcc, 5, v10
	v_cmp_eq_u32_e64 s[0:1], 3, v10
	v_cvt_f64_f32_e32 v[10:11], v4
	v_lshrrev_b32_e32 v8, 2, v8
	s_or_b64 vcc, s[0:1], vcc
	v_addc_co_u32_e32 v4, vcc, 0, v8, vcc
	v_mul_f64 v[10:11], v[10:11], s[14:15]
	v_cmp_gt_i32_e32 vcc, 31, v12
	v_cndmask_b32_e32 v4, v6, v4, vcc
	v_cmp_ne_u32_e32 vcc, 0, v0
	v_cndmask_b32_e64 v0, 0, 1, vcc
	v_lshl_or_b32 v0, v0, 9, v6
	v_cmp_eq_u32_e32 vcc, s16, v12
	v_cndmask_b32_e32 v0, v4, v0, vcc
	v_lshrrev_b32_e32 v1, 16, v1
	v_and_or_b32 v4, v1, s10, v0
	v_and_or_b32 v0, v11, s18, v10
	v_cmp_ne_u32_e32 vcc, 0, v0
	v_cndmask_b32_e64 v0, 0, 1, vcc
	v_lshrrev_b32_e32 v1, 8, v11
	v_bfe_u32 v8, v11, 20, 11
	v_and_or_b32 v0, v1, s17, v0
	v_sub_u32_e32 v10, 0x3f1, v8
	v_or_b32_e32 v1, 0x1000, v0
	v_med3_i32 v10, v10, 0, 13
	v_lshrrev_b32_e32 v12, v10, v1
	v_lshlrev_b32_e32 v10, v10, v12
	v_cmp_ne_u32_e32 vcc, v10, v1
	v_cndmask_b32_e64 v1, 0, 1, vcc
	v_add_u32_e32 v8, 0xfffffc10, v8
	v_or_b32_e32 v1, v12, v1
	v_lshl_or_b32 v10, v8, 12, v0
	v_cmp_gt_i32_e32 vcc, 1, v8
	v_cndmask_b32_e32 v1, v10, v1, vcc
	v_and_b32_e32 v10, 7, v1
	v_cmp_lt_i32_e32 vcc, 5, v10
	v_cmp_eq_u32_e64 s[0:1], 3, v10
	v_lshrrev_b32_e32 v10, 16, v5
	v_lshrrev_b32_e32 v1, 2, v1
	s_or_b64 vcc, s[0:1], vcc
	s_waitcnt vmcnt(6)
	v_mul_f16_sdwa v12, v10, v15 dst_sel:DWORD dst_unused:UNUSED_PAD src0_sel:DWORD src1_sel:WORD_1
	v_addc_co_u32_e32 v1, vcc, 0, v1, vcc
	v_fma_f16 v12, v5, v15, v12
	v_cmp_gt_i32_e32 vcc, 31, v8
	v_cvt_f32_f16_e32 v12, v12
	v_cndmask_b32_e32 v1, v6, v1, vcc
	v_cmp_ne_u32_e32 vcc, 0, v0
	v_cndmask_b32_e64 v0, 0, 1, vcc
	v_lshl_or_b32 v0, v0, 9, v6
	v_cmp_eq_u32_e32 vcc, s16, v8
	v_cndmask_b32_e32 v8, v1, v0, vcc
	v_cvt_f64_f32_e32 v[0:1], v12
	v_lshrrev_b32_e32 v11, 16, v11
	v_and_or_b32 v8, v11, s10, v8
	v_and_b32_e32 v4, 0xffff, v4
	v_mul_f64 v[0:1], v[0:1], s[14:15]
	v_lshl_or_b32 v4, v8, 16, v4
	v_mov_b32_e32 v8, s2
	v_add_co_u32_e32 v2, vcc, s3, v2
	v_addc_co_u32_e32 v3, vcc, v3, v8, vcc
	global_store_dword v[2:3], v4, off
	v_and_or_b32 v0, v1, s18, v0
	v_cmp_ne_u32_e32 vcc, 0, v0
	v_cndmask_b32_e64 v0, 0, 1, vcc
	v_lshrrev_b32_e32 v4, 8, v1
	v_bfe_u32 v8, v1, 20, 11
	v_and_or_b32 v0, v4, s17, v0
	v_sub_u32_e32 v11, 0x3f1, v8
	v_or_b32_e32 v4, 0x1000, v0
	v_med3_i32 v11, v11, 0, 13
	v_lshrrev_b32_e32 v12, v11, v4
	v_mul_f16_sdwa v5, v5, v15 dst_sel:DWORD dst_unused:UNUSED_PAD src0_sel:DWORD src1_sel:WORD_1
	v_lshlrev_b32_e32 v11, v11, v12
	v_fma_f16 v5, v15, v10, -v5
	v_cmp_ne_u32_e32 vcc, v11, v4
	v_cvt_f32_f16_e32 v5, v5
	v_cndmask_b32_e64 v4, 0, 1, vcc
	v_add_u32_e32 v8, 0xfffffc10, v8
	v_or_b32_e32 v4, v12, v4
	v_lshl_or_b32 v11, v8, 12, v0
	v_cmp_gt_i32_e32 vcc, 1, v8
	v_cndmask_b32_e32 v4, v11, v4, vcc
	v_and_b32_e32 v11, 7, v4
	v_lshrrev_b32_e32 v10, 2, v4
	v_cvt_f64_f32_e32 v[4:5], v5
	v_cmp_lt_i32_e32 vcc, 5, v11
	v_cmp_eq_u32_e64 s[0:1], 3, v11
	s_or_b64 vcc, s[0:1], vcc
	v_mul_f64 v[4:5], v[4:5], s[14:15]
	v_addc_co_u32_e32 v10, vcc, 0, v10, vcc
	v_cmp_gt_i32_e32 vcc, 31, v8
	v_cndmask_b32_e32 v10, v6, v10, vcc
	v_cmp_ne_u32_e32 vcc, 0, v0
	v_cndmask_b32_e64 v0, 0, 1, vcc
	v_lshl_or_b32 v0, v0, 9, v6
	v_cmp_eq_u32_e32 vcc, s16, v8
	v_cndmask_b32_e32 v0, v10, v0, vcc
	v_lshrrev_b32_e32 v1, 16, v1
	v_and_or_b32 v8, v1, s10, v0
	v_and_or_b32 v0, v5, s18, v4
	v_cmp_ne_u32_e32 vcc, 0, v0
	v_cndmask_b32_e64 v0, 0, 1, vcc
	v_lshrrev_b32_e32 v1, 8, v5
	v_and_or_b32 v4, v1, s17, v0
	v_bfe_u32 v1, v5, 20, 11
	v_sub_u32_e32 v10, 0x3f1, v1
	v_or_b32_e32 v0, 0x1000, v4
	v_med3_i32 v10, v10, 0, 13
	v_lshrrev_b32_e32 v11, v10, v0
	v_lshlrev_b32_e32 v10, v10, v11
	v_cmp_ne_u32_e32 vcc, v10, v0
	v_cndmask_b32_e64 v0, 0, 1, vcc
	v_add_u32_e32 v10, 0xfffffc10, v1
	v_or_b32_e32 v0, v11, v0
	v_lshl_or_b32 v1, v10, 12, v4
	v_cmp_gt_i32_e32 vcc, 1, v10
	v_cndmask_b32_e32 v0, v1, v0, vcc
	v_and_b32_e32 v1, 7, v0
	v_cmp_lt_i32_e32 vcc, 5, v1
	v_cmp_eq_u32_e64 s[0:1], 3, v1
	v_lshrrev_b32_e32 v0, 2, v0
	s_or_b64 vcc, s[0:1], vcc
	v_addc_co_u32_e32 v11, vcc, 0, v0, vcc
	v_add_u32_e32 v0, 0x400, v29
	ds_read2_b32 v[0:1], v0 offset0:94 offset1:164
	v_cmp_gt_i32_e32 vcc, 31, v10
	v_cndmask_b32_e32 v11, v6, v11, vcc
	v_cmp_ne_u32_e32 vcc, 0, v4
	v_cndmask_b32_e64 v4, 0, 1, vcc
	s_waitcnt lgkmcnt(0)
	v_lshrrev_b32_e32 v12, 16, v0
	s_waitcnt vmcnt(6)
	v_mul_f16_sdwa v13, v12, v16 dst_sel:DWORD dst_unused:UNUSED_PAD src0_sel:DWORD src1_sel:WORD_1
	v_fma_f16 v13, v0, v16, v13
	v_cvt_f32_f16_e32 v13, v13
	v_lshl_or_b32 v4, v4, 9, v6
	v_cmp_eq_u32_e32 vcc, s16, v10
	v_cndmask_b32_e32 v4, v11, v4, vcc
	v_cvt_f64_f32_e32 v[10:11], v13
	v_lshrrev_b32_e32 v5, 16, v5
	v_and_or_b32 v13, v5, s10, v4
	v_add_co_u32_e32 v2, vcc, s3, v2
	v_mul_f64 v[4:5], v[10:11], s[14:15]
	v_mov_b32_e32 v10, s2
	v_and_b32_e32 v8, 0xffff, v8
	v_addc_co_u32_e32 v3, vcc, v3, v10, vcc
	v_lshl_or_b32 v8, v13, 16, v8
	global_store_dword v[2:3], v8, off
	v_mul_f16_sdwa v0, v0, v16 dst_sel:DWORD dst_unused:UNUSED_PAD src0_sel:DWORD src1_sel:WORD_1
	v_and_or_b32 v4, v5, s18, v4
	v_cmp_ne_u32_e32 vcc, 0, v4
	v_cndmask_b32_e64 v4, 0, 1, vcc
	v_lshrrev_b32_e32 v8, 8, v5
	v_bfe_u32 v10, v5, 20, 11
	v_and_or_b32 v4, v8, s17, v4
	v_sub_u32_e32 v11, 0x3f1, v10
	v_or_b32_e32 v8, 0x1000, v4
	v_med3_i32 v11, v11, 0, 13
	v_lshrrev_b32_e32 v13, v11, v8
	v_lshlrev_b32_e32 v11, v11, v13
	v_cmp_ne_u32_e32 vcc, v11, v8
	v_cndmask_b32_e64 v8, 0, 1, vcc
	v_fma_f16 v0, v16, v12, -v0
	v_or_b32_e32 v8, v13, v8
	v_add_u32_e32 v13, 0xfffffc10, v10
	v_cvt_f32_f16_e32 v0, v0
	v_lshl_or_b32 v10, v13, 12, v4
	v_cmp_gt_i32_e32 vcc, 1, v13
	v_cndmask_b32_e32 v8, v10, v8, vcc
	v_and_b32_e32 v10, 7, v8
	v_cmp_lt_i32_e32 vcc, 5, v10
	v_cmp_eq_u32_e64 s[0:1], 3, v10
	v_cvt_f64_f32_e32 v[10:11], v0
	v_lshrrev_b32_e32 v8, 2, v8
	s_or_b64 vcc, s[0:1], vcc
	v_addc_co_u32_e32 v0, vcc, 0, v8, vcc
	v_mul_f64 v[10:11], v[10:11], s[14:15]
	v_cmp_gt_i32_e32 vcc, 31, v13
	v_cndmask_b32_e32 v0, v6, v0, vcc
	v_cmp_ne_u32_e32 vcc, 0, v4
	v_cndmask_b32_e64 v4, 0, 1, vcc
	v_lshl_or_b32 v4, v4, 9, v6
	v_cmp_eq_u32_e32 vcc, s16, v13
	v_cndmask_b32_e32 v0, v0, v4, vcc
	v_lshrrev_b32_e32 v4, 16, v5
	v_and_or_b32 v0, v4, s10, v0
	v_and_or_b32 v4, v11, s18, v10
	v_cmp_ne_u32_e32 vcc, 0, v4
	v_cndmask_b32_e64 v4, 0, 1, vcc
	v_lshrrev_b32_e32 v5, 8, v11
	v_bfe_u32 v8, v11, 20, 11
	v_and_or_b32 v4, v5, s17, v4
	v_sub_u32_e32 v10, 0x3f1, v8
	v_or_b32_e32 v5, 0x1000, v4
	v_med3_i32 v10, v10, 0, 13
	v_lshrrev_b32_e32 v12, v10, v5
	v_lshlrev_b32_e32 v10, v10, v12
	v_cmp_ne_u32_e32 vcc, v10, v5
	v_cndmask_b32_e64 v5, 0, 1, vcc
	v_add_u32_e32 v8, 0xfffffc10, v8
	v_or_b32_e32 v5, v12, v5
	v_lshl_or_b32 v10, v8, 12, v4
	v_cmp_gt_i32_e32 vcc, 1, v8
	v_cndmask_b32_e32 v5, v10, v5, vcc
	v_and_b32_e32 v10, 7, v5
	v_cmp_lt_i32_e32 vcc, 5, v10
	v_cmp_eq_u32_e64 s[0:1], 3, v10
	v_lshrrev_b32_e32 v10, 16, v1
	v_lshrrev_b32_e32 v5, 2, v5
	s_or_b64 vcc, s[0:1], vcc
	s_waitcnt vmcnt(6)
	v_mul_f16_sdwa v12, v10, v17 dst_sel:DWORD dst_unused:UNUSED_PAD src0_sel:DWORD src1_sel:WORD_1
	v_addc_co_u32_e32 v5, vcc, 0, v5, vcc
	v_fma_f16 v12, v1, v17, v12
	v_cmp_gt_i32_e32 vcc, 31, v8
	v_cvt_f32_f16_e32 v12, v12
	v_cndmask_b32_e32 v5, v6, v5, vcc
	v_cmp_ne_u32_e32 vcc, 0, v4
	v_cndmask_b32_e64 v4, 0, 1, vcc
	v_lshl_or_b32 v4, v4, 9, v6
	v_cmp_eq_u32_e32 vcc, s16, v8
	v_cndmask_b32_e32 v8, v5, v4, vcc
	v_cvt_f64_f32_e32 v[4:5], v12
	v_lshrrev_b32_e32 v11, 16, v11
	v_and_or_b32 v8, v11, s10, v8
	v_and_b32_e32 v0, 0xffff, v0
	v_mul_f64 v[4:5], v[4:5], s[14:15]
	v_lshl_or_b32 v0, v8, 16, v0
	v_mov_b32_e32 v8, s2
	v_add_co_u32_e32 v2, vcc, s3, v2
	v_addc_co_u32_e32 v3, vcc, v3, v8, vcc
	global_store_dword v[2:3], v0, off
	v_and_or_b32 v0, v5, s18, v4
	v_cmp_ne_u32_e32 vcc, 0, v0
	v_cndmask_b32_e64 v0, 0, 1, vcc
	v_lshrrev_b32_e32 v4, 8, v5
	v_bfe_u32 v8, v5, 20, 11
	v_and_or_b32 v4, v4, s17, v0
	v_sub_u32_e32 v11, 0x3f1, v8
	v_or_b32_e32 v0, 0x1000, v4
	v_med3_i32 v11, v11, 0, 13
	v_lshrrev_b32_e32 v12, v11, v0
	v_mul_f16_sdwa v1, v1, v17 dst_sel:DWORD dst_unused:UNUSED_PAD src0_sel:DWORD src1_sel:WORD_1
	v_lshlrev_b32_e32 v11, v11, v12
	v_fma_f16 v1, v17, v10, -v1
	v_cmp_ne_u32_e32 vcc, v11, v0
	v_cvt_f32_f16_e32 v1, v1
	v_cndmask_b32_e64 v0, 0, 1, vcc
	v_add_u32_e32 v8, 0xfffffc10, v8
	v_or_b32_e32 v0, v12, v0
	v_lshl_or_b32 v11, v8, 12, v4
	v_cmp_gt_i32_e32 vcc, 1, v8
	v_cndmask_b32_e32 v0, v11, v0, vcc
	v_and_b32_e32 v11, 7, v0
	v_lshrrev_b32_e32 v10, 2, v0
	v_cvt_f64_f32_e32 v[0:1], v1
	v_cmp_lt_i32_e32 vcc, 5, v11
	v_cmp_eq_u32_e64 s[0:1], 3, v11
	s_or_b64 vcc, s[0:1], vcc
	v_mul_f64 v[0:1], v[0:1], s[14:15]
	v_addc_co_u32_e32 v10, vcc, 0, v10, vcc
	v_cmp_gt_i32_e32 vcc, 31, v8
	v_cndmask_b32_e32 v10, v6, v10, vcc
	v_cmp_ne_u32_e32 vcc, 0, v4
	v_cndmask_b32_e64 v4, 0, 1, vcc
	v_lshl_or_b32 v4, v4, 9, v6
	v_cmp_eq_u32_e32 vcc, s16, v8
	v_and_or_b32 v0, v1, s18, v0
	v_cndmask_b32_e32 v4, v10, v4, vcc
	v_lshrrev_b32_e32 v5, 16, v5
	v_cmp_ne_u32_e32 vcc, 0, v0
	v_and_or_b32 v8, v5, s10, v4
	v_cndmask_b32_e64 v0, 0, 1, vcc
	v_lshrrev_b32_e32 v4, 8, v1
	v_bfe_u32 v5, v1, 20, 11
	v_and_or_b32 v0, v4, s17, v0
	v_sub_u32_e32 v10, 0x3f1, v5
	v_or_b32_e32 v4, 0x1000, v0
	v_med3_i32 v10, v10, 0, 13
	v_lshrrev_b32_e32 v11, v10, v4
	v_lshlrev_b32_e32 v10, v10, v11
	v_cmp_ne_u32_e32 vcc, v10, v4
	v_cndmask_b32_e64 v4, 0, 1, vcc
	v_add_u32_e32 v10, 0xfffffc10, v5
	v_or_b32_e32 v4, v11, v4
	v_lshl_or_b32 v5, v10, 12, v0
	v_cmp_gt_i32_e32 vcc, 1, v10
	v_cndmask_b32_e32 v4, v5, v4, vcc
	v_and_b32_e32 v5, 7, v4
	v_cmp_lt_i32_e32 vcc, 5, v5
	v_cmp_eq_u32_e64 s[0:1], 3, v5
	v_lshrrev_b32_e32 v4, 2, v4
	s_or_b64 vcc, s[0:1], vcc
	v_addc_co_u32_e32 v11, vcc, 0, v4, vcc
	v_cmp_gt_i32_e32 vcc, 31, v10
	ds_read2_b32 v[4:5], v7 offset0:106 offset1:176
	v_cndmask_b32_e32 v7, v6, v11, vcc
	v_cmp_ne_u32_e32 vcc, 0, v0
	v_cndmask_b32_e64 v0, 0, 1, vcc
	v_lshl_or_b32 v0, v0, 9, v6
	v_cmp_eq_u32_e32 vcc, s16, v10
	v_cndmask_b32_e32 v7, v7, v0, vcc
	v_lshrrev_b32_e32 v10, 16, v1
	v_and_or_b32 v7, v10, s10, v7
	global_load_dword v10, v27, s[6:7] offset:2240
	s_waitcnt lgkmcnt(0)
	v_lshrrev_b32_e32 v11, 16, v4
	s_waitcnt vmcnt(7)
	v_mul_f16_sdwa v12, v11, v9 dst_sel:DWORD dst_unused:UNUSED_PAD src0_sel:DWORD src1_sel:WORD_1
	v_fma_f16 v12, v4, v9, v12
	v_cvt_f32_f16_e32 v12, v12
	v_and_b32_e32 v8, 0xffff, v8
	v_lshl_or_b32 v7, v7, 16, v8
	v_mov_b32_e32 v8, s2
	v_cvt_f64_f32_e32 v[0:1], v12
	v_add_co_u32_e32 v2, vcc, s3, v2
	v_addc_co_u32_e32 v3, vcc, v3, v8, vcc
	v_mul_f64 v[0:1], v[0:1], s[14:15]
	global_store_dword v[2:3], v7, off
	v_mul_f16_sdwa v4, v4, v9 dst_sel:DWORD dst_unused:UNUSED_PAD src0_sel:DWORD src1_sel:WORD_1
	v_fma_f16 v4, v9, v11, -v4
	v_cvt_f32_f16_e32 v4, v4
	v_and_or_b32 v0, v1, s18, v0
	v_cmp_ne_u32_e32 vcc, 0, v0
	v_cndmask_b32_e64 v0, 0, 1, vcc
	v_lshrrev_b32_e32 v7, 8, v1
	v_bfe_u32 v8, v1, 20, 11
	v_and_or_b32 v0, v7, s17, v0
	v_sub_u32_e32 v12, 0x3f1, v8
	v_or_b32_e32 v7, 0x1000, v0
	v_med3_i32 v12, v12, 0, 13
	v_lshrrev_b32_e32 v13, v12, v7
	v_lshlrev_b32_e32 v12, v12, v13
	v_cmp_ne_u32_e32 vcc, v12, v7
	v_cndmask_b32_e64 v7, 0, 1, vcc
	v_add_u32_e32 v12, 0xfffffc10, v8
	v_or_b32_e32 v7, v13, v7
	v_lshl_or_b32 v8, v12, 12, v0
	v_cmp_gt_i32_e32 vcc, 1, v12
	v_cndmask_b32_e32 v7, v8, v7, vcc
	v_and_b32_e32 v8, 7, v7
	v_cmp_lt_i32_e32 vcc, 5, v8
	v_cmp_eq_u32_e64 s[0:1], 3, v8
	v_lshrrev_b32_e32 v9, 2, v7
	v_cvt_f64_f32_e32 v[7:8], v4
	s_or_b64 vcc, s[0:1], vcc
	v_addc_co_u32_e32 v4, vcc, 0, v9, vcc
	v_mul_f64 v[7:8], v[7:8], s[14:15]
	v_cmp_gt_i32_e32 vcc, 31, v12
	v_cndmask_b32_e32 v4, v6, v4, vcc
	v_cmp_ne_u32_e32 vcc, 0, v0
	v_cndmask_b32_e64 v0, 0, 1, vcc
	v_lshl_or_b32 v0, v0, 9, v6
	v_cmp_eq_u32_e32 vcc, s16, v12
	v_cndmask_b32_e32 v0, v4, v0, vcc
	v_lshrrev_b32_e32 v1, 16, v1
	v_and_or_b32 v4, v1, s10, v0
	v_and_or_b32 v0, v8, s18, v7
	v_cmp_ne_u32_e32 vcc, 0, v0
	v_cndmask_b32_e64 v0, 0, 1, vcc
	v_lshrrev_b32_e32 v1, 8, v8
	v_bfe_u32 v7, v8, 20, 11
	v_and_or_b32 v0, v1, s17, v0
	v_sub_u32_e32 v9, 0x3f1, v7
	v_or_b32_e32 v1, 0x1000, v0
	v_med3_i32 v9, v9, 0, 13
	v_lshrrev_b32_e32 v11, v9, v1
	v_lshlrev_b32_e32 v9, v9, v11
	v_cmp_ne_u32_e32 vcc, v9, v1
	v_cndmask_b32_e64 v1, 0, 1, vcc
	v_or_b32_e32 v1, v11, v1
	global_load_dword v11, v27, s[6:7] offset:2520
	global_load_dword v12, v27, s[6:7] offset:2800
	v_add_u32_e32 v7, 0xfffffc10, v7
	v_lshl_or_b32 v9, v7, 12, v0
	v_cmp_gt_i32_e32 vcc, 1, v7
	v_cndmask_b32_e32 v1, v9, v1, vcc
	v_and_b32_e32 v9, 7, v1
	v_cmp_lt_i32_e32 vcc, 5, v9
	v_cmp_eq_u32_e64 s[0:1], 3, v9
	v_lshrrev_b32_e32 v9, 16, v5
	v_lshrrev_b32_e32 v1, 2, v1
	s_or_b64 vcc, s[0:1], vcc
	s_waitcnt vmcnt(3)
	v_mul_f16_sdwa v13, v9, v10 dst_sel:DWORD dst_unused:UNUSED_PAD src0_sel:DWORD src1_sel:WORD_1
	v_addc_co_u32_e32 v1, vcc, 0, v1, vcc
	v_fma_f16 v13, v5, v10, v13
	v_cmp_gt_i32_e32 vcc, 31, v7
	v_cvt_f32_f16_e32 v13, v13
	v_cndmask_b32_e32 v1, v6, v1, vcc
	v_cmp_ne_u32_e32 vcc, 0, v0
	v_cndmask_b32_e64 v0, 0, 1, vcc
	v_lshl_or_b32 v0, v0, 9, v6
	v_cmp_eq_u32_e32 vcc, s16, v7
	v_cndmask_b32_e32 v7, v1, v0, vcc
	v_cvt_f64_f32_e32 v[0:1], v13
	v_lshrrev_b32_e32 v8, 16, v8
	v_and_or_b32 v7, v8, s10, v7
	v_and_b32_e32 v4, 0xffff, v4
	v_mul_f64 v[0:1], v[0:1], s[14:15]
	v_lshl_or_b32 v4, v7, 16, v4
	v_mov_b32_e32 v7, s2
	v_add_co_u32_e32 v2, vcc, s3, v2
	v_addc_co_u32_e32 v3, vcc, v3, v7, vcc
	global_store_dword v[2:3], v4, off
	v_and_or_b32 v0, v1, s18, v0
	v_cmp_ne_u32_e32 vcc, 0, v0
	v_cndmask_b32_e64 v0, 0, 1, vcc
	v_lshrrev_b32_e32 v4, 8, v1
	v_bfe_u32 v7, v1, 20, 11
	v_and_or_b32 v0, v4, s17, v0
	v_sub_u32_e32 v8, 0x3f1, v7
	v_or_b32_e32 v4, 0x1000, v0
	v_med3_i32 v8, v8, 0, 13
	v_lshrrev_b32_e32 v13, v8, v4
	v_lshlrev_b32_e32 v8, v8, v13
	v_mul_f16_sdwa v5, v5, v10 dst_sel:DWORD dst_unused:UNUSED_PAD src0_sel:DWORD src1_sel:WORD_1
	v_cmp_ne_u32_e32 vcc, v8, v4
	v_fma_f16 v5, v10, v9, -v5
	v_cndmask_b32_e64 v4, 0, 1, vcc
	v_add_u32_e32 v7, 0xfffffc10, v7
	v_cvt_f32_f16_e32 v5, v5
	v_or_b32_e32 v4, v13, v4
	v_lshl_or_b32 v8, v7, 12, v0
	v_cmp_gt_i32_e32 vcc, 1, v7
	v_cndmask_b32_e32 v4, v8, v4, vcc
	v_and_b32_e32 v8, 7, v4
	v_cmp_lt_i32_e32 vcc, 5, v8
	v_cmp_eq_u32_e64 s[0:1], 3, v8
	v_lshrrev_b32_e32 v8, 2, v4
	v_cvt_f64_f32_e32 v[4:5], v5
	s_or_b64 vcc, s[0:1], vcc
	v_addc_co_u32_e32 v8, vcc, 0, v8, vcc
	v_mul_f64 v[4:5], v[4:5], s[14:15]
	v_cmp_gt_i32_e32 vcc, 31, v7
	v_cndmask_b32_e32 v8, v6, v8, vcc
	v_cmp_ne_u32_e32 vcc, 0, v0
	v_cndmask_b32_e64 v0, 0, 1, vcc
	v_lshl_or_b32 v0, v0, 9, v6
	v_cmp_eq_u32_e32 vcc, s16, v7
	v_cndmask_b32_e32 v0, v8, v0, vcc
	v_lshrrev_b32_e32 v1, 16, v1
	v_and_or_b32 v9, v1, s10, v0
	v_and_or_b32 v0, v5, s18, v4
	v_cmp_ne_u32_e32 vcc, 0, v0
	v_cndmask_b32_e64 v0, 0, 1, vcc
	v_lshrrev_b32_e32 v1, 8, v5
	v_and_or_b32 v4, v1, s17, v0
	v_bfe_u32 v1, v5, 20, 11
	v_sub_u32_e32 v7, 0x3f1, v1
	v_or_b32_e32 v0, 0x1000, v4
	v_med3_i32 v7, v7, 0, 13
	v_lshrrev_b32_e32 v8, v7, v0
	v_lshlrev_b32_e32 v7, v7, v8
	v_cmp_ne_u32_e32 vcc, v7, v0
	v_cndmask_b32_e64 v0, 0, 1, vcc
	v_add_u32_e32 v7, 0xfffffc10, v1
	v_or_b32_e32 v0, v8, v0
	v_lshl_or_b32 v1, v7, 12, v4
	v_cmp_gt_i32_e32 vcc, 1, v7
	v_cndmask_b32_e32 v0, v1, v0, vcc
	v_and_b32_e32 v1, 7, v0
	v_cmp_lt_i32_e32 vcc, 5, v1
	v_cmp_eq_u32_e64 s[0:1], 3, v1
	v_lshrrev_b32_e32 v0, 2, v0
	s_or_b64 vcc, s[0:1], vcc
	v_addc_co_u32_e32 v8, vcc, 0, v0, vcc
	v_add_u32_e32 v0, 0x800, v29
	ds_read2_b32 v[0:1], v0 offset0:118 offset1:188
	v_cmp_gt_i32_e32 vcc, 31, v7
	v_cndmask_b32_e32 v8, v6, v8, vcc
	v_cmp_ne_u32_e32 vcc, 0, v4
	v_cndmask_b32_e64 v4, 0, 1, vcc
	s_waitcnt lgkmcnt(0)
	v_lshrrev_b32_e32 v10, 16, v0
	s_waitcnt vmcnt(2)
	v_mul_f16_sdwa v13, v10, v11 dst_sel:DWORD dst_unused:UNUSED_PAD src0_sel:DWORD src1_sel:WORD_1
	v_fma_f16 v13, v0, v11, v13
	v_cvt_f32_f16_e32 v13, v13
	v_lshl_or_b32 v4, v4, 9, v6
	v_cmp_eq_u32_e32 vcc, s16, v7
	v_cndmask_b32_e32 v4, v8, v4, vcc
	v_cvt_f64_f32_e32 v[7:8], v13
	v_lshrrev_b32_e32 v5, 16, v5
	v_and_or_b32 v13, v5, s10, v4
	v_add_co_u32_e32 v2, vcc, s3, v2
	v_mul_f64 v[4:5], v[7:8], s[14:15]
	v_mov_b32_e32 v8, s2
	v_and_b32_e32 v9, 0xffff, v9
	v_addc_co_u32_e32 v3, vcc, v3, v8, vcc
	v_lshl_or_b32 v7, v13, 16, v9
	global_store_dword v[2:3], v7, off
	v_mul_f16_sdwa v0, v0, v11 dst_sel:DWORD dst_unused:UNUSED_PAD src0_sel:DWORD src1_sel:WORD_1
	v_and_or_b32 v4, v5, s18, v4
	v_cmp_ne_u32_e32 vcc, 0, v4
	v_cndmask_b32_e64 v4, 0, 1, vcc
	v_lshrrev_b32_e32 v7, 8, v5
	v_bfe_u32 v8, v5, 20, 11
	v_and_or_b32 v4, v7, s17, v4
	v_sub_u32_e32 v9, 0x3f1, v8
	v_or_b32_e32 v7, 0x1000, v4
	v_med3_i32 v9, v9, 0, 13
	v_lshrrev_b32_e32 v13, v9, v7
	v_lshlrev_b32_e32 v9, v9, v13
	v_cmp_ne_u32_e32 vcc, v9, v7
	v_fma_f16 v0, v11, v10, -v0
	v_cndmask_b32_e64 v7, 0, 1, vcc
	v_add_u32_e32 v9, 0xfffffc10, v8
	v_cvt_f32_f16_e32 v0, v0
	v_or_b32_e32 v7, v13, v7
	v_lshl_or_b32 v8, v9, 12, v4
	v_cmp_gt_i32_e32 vcc, 1, v9
	v_cndmask_b32_e32 v7, v8, v7, vcc
	v_and_b32_e32 v8, 7, v7
	v_cmp_lt_i32_e32 vcc, 5, v8
	v_cmp_eq_u32_e64 s[0:1], 3, v8
	v_lshrrev_b32_e32 v10, 2, v7
	v_cvt_f64_f32_e32 v[7:8], v0
	s_or_b64 vcc, s[0:1], vcc
	v_addc_co_u32_e32 v0, vcc, 0, v10, vcc
	v_mul_f64 v[7:8], v[7:8], s[14:15]
	v_cmp_gt_i32_e32 vcc, 31, v9
	v_cndmask_b32_e32 v0, v6, v0, vcc
	v_cmp_ne_u32_e32 vcc, 0, v4
	v_cndmask_b32_e64 v4, 0, 1, vcc
	v_lshl_or_b32 v4, v4, 9, v6
	v_cmp_eq_u32_e32 vcc, s16, v9
	v_cndmask_b32_e32 v0, v0, v4, vcc
	v_lshrrev_b32_e32 v4, 16, v5
	v_and_or_b32 v0, v4, s10, v0
	v_and_or_b32 v4, v8, s18, v7
	v_cmp_ne_u32_e32 vcc, 0, v4
	v_cndmask_b32_e64 v4, 0, 1, vcc
	v_lshrrev_b32_e32 v5, 8, v8
	v_bfe_u32 v7, v8, 20, 11
	v_and_or_b32 v4, v5, s17, v4
	v_sub_u32_e32 v9, 0x3f1, v7
	v_or_b32_e32 v5, 0x1000, v4
	v_med3_i32 v9, v9, 0, 13
	v_lshrrev_b32_e32 v10, v9, v5
	v_lshlrev_b32_e32 v9, v9, v10
	v_cmp_ne_u32_e32 vcc, v9, v5
	v_cndmask_b32_e64 v5, 0, 1, vcc
	v_add_u32_e32 v7, 0xfffffc10, v7
	v_or_b32_e32 v5, v10, v5
	v_lshl_or_b32 v9, v7, 12, v4
	v_cmp_gt_i32_e32 vcc, 1, v7
	v_cndmask_b32_e32 v5, v9, v5, vcc
	v_and_b32_e32 v9, 7, v5
	v_cmp_lt_i32_e32 vcc, 5, v9
	v_cmp_eq_u32_e64 s[0:1], 3, v9
	v_lshrrev_b32_e32 v9, 16, v1
	v_lshrrev_b32_e32 v5, 2, v5
	s_or_b64 vcc, s[0:1], vcc
	s_waitcnt vmcnt(2)
	v_mul_f16_sdwa v10, v9, v12 dst_sel:DWORD dst_unused:UNUSED_PAD src0_sel:DWORD src1_sel:WORD_1
	v_addc_co_u32_e32 v5, vcc, 0, v5, vcc
	v_fma_f16 v10, v1, v12, v10
	v_cmp_gt_i32_e32 vcc, 31, v7
	v_cvt_f32_f16_e32 v10, v10
	v_cndmask_b32_e32 v5, v6, v5, vcc
	v_cmp_ne_u32_e32 vcc, 0, v4
	v_cndmask_b32_e64 v4, 0, 1, vcc
	v_lshl_or_b32 v4, v4, 9, v6
	v_cmp_eq_u32_e32 vcc, s16, v7
	v_cndmask_b32_e32 v7, v5, v4, vcc
	v_cvt_f64_f32_e32 v[4:5], v10
	v_lshrrev_b32_e32 v8, 16, v8
	v_and_or_b32 v7, v8, s10, v7
	v_and_b32_e32 v0, 0xffff, v0
	v_mul_f64 v[4:5], v[4:5], s[14:15]
	v_lshl_or_b32 v0, v7, 16, v0
	v_mov_b32_e32 v7, s2
	v_add_co_u32_e32 v2, vcc, s3, v2
	v_addc_co_u32_e32 v3, vcc, v3, v7, vcc
	global_store_dword v[2:3], v0, off
	v_and_or_b32 v0, v5, s18, v4
	v_cmp_ne_u32_e32 vcc, 0, v0
	v_cndmask_b32_e64 v0, 0, 1, vcc
	v_lshrrev_b32_e32 v4, 8, v5
	v_bfe_u32 v7, v5, 20, 11
	v_and_or_b32 v4, v4, s17, v0
	v_sub_u32_e32 v8, 0x3f1, v7
	v_or_b32_e32 v0, 0x1000, v4
	v_med3_i32 v8, v8, 0, 13
	v_lshrrev_b32_e32 v10, v8, v0
	v_lshlrev_b32_e32 v8, v8, v10
	v_mul_f16_sdwa v1, v1, v12 dst_sel:DWORD dst_unused:UNUSED_PAD src0_sel:DWORD src1_sel:WORD_1
	v_cmp_ne_u32_e32 vcc, v8, v0
	v_fma_f16 v1, v12, v9, -v1
	v_cndmask_b32_e64 v0, 0, 1, vcc
	v_add_u32_e32 v7, 0xfffffc10, v7
	v_cvt_f32_f16_e32 v1, v1
	v_or_b32_e32 v0, v10, v0
	v_lshl_or_b32 v8, v7, 12, v4
	v_cmp_gt_i32_e32 vcc, 1, v7
	v_cndmask_b32_e32 v0, v8, v0, vcc
	v_and_b32_e32 v8, 7, v0
	v_cmp_lt_i32_e32 vcc, 5, v8
	v_cmp_eq_u32_e64 s[0:1], 3, v8
	v_lshrrev_b32_e32 v8, 2, v0
	v_cvt_f64_f32_e32 v[0:1], v1
	s_or_b64 vcc, s[0:1], vcc
	v_addc_co_u32_e32 v8, vcc, 0, v8, vcc
	v_mul_f64 v[0:1], v[0:1], s[14:15]
	v_cmp_gt_i32_e32 vcc, 31, v7
	v_cndmask_b32_e32 v8, v6, v8, vcc
	v_cmp_ne_u32_e32 vcc, 0, v4
	v_cndmask_b32_e64 v4, 0, 1, vcc
	v_lshl_or_b32 v4, v4, 9, v6
	v_cmp_eq_u32_e32 vcc, s16, v7
	v_cndmask_b32_e32 v4, v8, v4, vcc
	v_and_or_b32 v0, v1, s18, v0
	v_lshrrev_b32_e32 v5, 16, v5
	v_cmp_ne_u32_e32 vcc, 0, v0
	v_and_or_b32 v4, v5, s10, v4
	v_cndmask_b32_e64 v0, 0, 1, vcc
	v_lshrrev_b32_e32 v5, 8, v1
	v_bfe_u32 v7, v1, 20, 11
	v_and_or_b32 v0, v5, s17, v0
	v_sub_u32_e32 v8, 0x3f1, v7
	v_or_b32_e32 v5, 0x1000, v0
	v_med3_i32 v8, v8, 0, 13
	v_lshrrev_b32_e32 v9, v8, v5
	v_lshlrev_b32_e32 v8, v8, v9
	v_cmp_ne_u32_e32 vcc, v8, v5
	v_cndmask_b32_e64 v5, 0, 1, vcc
	v_add_u32_e32 v7, 0xfffffc10, v7
	v_or_b32_e32 v5, v9, v5
	v_lshl_or_b32 v8, v7, 12, v0
	v_cmp_gt_i32_e32 vcc, 1, v7
	v_cndmask_b32_e32 v5, v8, v5, vcc
	v_and_b32_e32 v8, 7, v5
	v_cmp_lt_i32_e32 vcc, 5, v8
	v_cmp_eq_u32_e64 s[0:1], 3, v8
	v_lshrrev_b32_e32 v5, 2, v5
	s_or_b64 vcc, s[0:1], vcc
	v_addc_co_u32_e32 v5, vcc, 0, v5, vcc
	v_cmp_gt_i32_e32 vcc, 31, v7
	v_cndmask_b32_e32 v5, v6, v5, vcc
	v_cmp_ne_u32_e32 vcc, 0, v0
	v_cndmask_b32_e64 v0, 0, 1, vcc
	v_lshl_or_b32 v0, v0, 9, v6
	v_cmp_eq_u32_e32 vcc, s16, v7
	v_cndmask_b32_e32 v0, v5, v0, vcc
	v_lshrrev_b32_e32 v1, 16, v1
	v_and_or_b32 v0, v1, s10, v0
	v_and_b32_e32 v1, 0xffff, v4
	v_lshl_or_b32 v4, v0, 16, v1
	v_mov_b32_e32 v1, s2
	v_add_co_u32_e32 v0, vcc, s3, v2
	v_addc_co_u32_e32 v1, vcc, v3, v1, vcc
	global_store_dword v[0:1], v4, off
.LBB0_23:
	s_endpgm
	.section	.rodata,"a",@progbits
	.p2align	6, 0x0
	.amdhsa_kernel bluestein_single_back_len770_dim1_half_op_CI_CI
		.amdhsa_group_segment_fixed_size 6160
		.amdhsa_private_segment_fixed_size 0
		.amdhsa_kernarg_size 104
		.amdhsa_user_sgpr_count 6
		.amdhsa_user_sgpr_private_segment_buffer 1
		.amdhsa_user_sgpr_dispatch_ptr 0
		.amdhsa_user_sgpr_queue_ptr 0
		.amdhsa_user_sgpr_kernarg_segment_ptr 1
		.amdhsa_user_sgpr_dispatch_id 0
		.amdhsa_user_sgpr_flat_scratch_init 0
		.amdhsa_user_sgpr_private_segment_size 0
		.amdhsa_uses_dynamic_stack 0
		.amdhsa_system_sgpr_private_segment_wavefront_offset 0
		.amdhsa_system_sgpr_workgroup_id_x 1
		.amdhsa_system_sgpr_workgroup_id_y 0
		.amdhsa_system_sgpr_workgroup_id_z 0
		.amdhsa_system_sgpr_workgroup_info 0
		.amdhsa_system_vgpr_workitem_id 0
		.amdhsa_next_free_vgpr 77
		.amdhsa_next_free_sgpr 25
		.amdhsa_reserve_vcc 1
		.amdhsa_reserve_flat_scratch 0
		.amdhsa_float_round_mode_32 0
		.amdhsa_float_round_mode_16_64 0
		.amdhsa_float_denorm_mode_32 3
		.amdhsa_float_denorm_mode_16_64 3
		.amdhsa_dx10_clamp 1
		.amdhsa_ieee_mode 1
		.amdhsa_fp16_overflow 0
		.amdhsa_exception_fp_ieee_invalid_op 0
		.amdhsa_exception_fp_denorm_src 0
		.amdhsa_exception_fp_ieee_div_zero 0
		.amdhsa_exception_fp_ieee_overflow 0
		.amdhsa_exception_fp_ieee_underflow 0
		.amdhsa_exception_fp_ieee_inexact 0
		.amdhsa_exception_int_div_zero 0
	.end_amdhsa_kernel
	.text
.Lfunc_end0:
	.size	bluestein_single_back_len770_dim1_half_op_CI_CI, .Lfunc_end0-bluestein_single_back_len770_dim1_half_op_CI_CI
                                        ; -- End function
	.section	.AMDGPU.csdata,"",@progbits
; Kernel info:
; codeLenInByte = 17264
; NumSgprs: 29
; NumVgprs: 77
; ScratchSize: 0
; MemoryBound: 0
; FloatMode: 240
; IeeeMode: 1
; LDSByteSize: 6160 bytes/workgroup (compile time only)
; SGPRBlocks: 3
; VGPRBlocks: 19
; NumSGPRsForWavesPerEU: 29
; NumVGPRsForWavesPerEU: 77
; Occupancy: 3
; WaveLimiterHint : 1
; COMPUTE_PGM_RSRC2:SCRATCH_EN: 0
; COMPUTE_PGM_RSRC2:USER_SGPR: 6
; COMPUTE_PGM_RSRC2:TRAP_HANDLER: 0
; COMPUTE_PGM_RSRC2:TGID_X_EN: 1
; COMPUTE_PGM_RSRC2:TGID_Y_EN: 0
; COMPUTE_PGM_RSRC2:TGID_Z_EN: 0
; COMPUTE_PGM_RSRC2:TIDIG_COMP_CNT: 0
	.type	__hip_cuid_1fbfe2b4279d331c,@object ; @__hip_cuid_1fbfe2b4279d331c
	.section	.bss,"aw",@nobits
	.globl	__hip_cuid_1fbfe2b4279d331c
__hip_cuid_1fbfe2b4279d331c:
	.byte	0                               ; 0x0
	.size	__hip_cuid_1fbfe2b4279d331c, 1

	.ident	"AMD clang version 19.0.0git (https://github.com/RadeonOpenCompute/llvm-project roc-6.4.0 25133 c7fe45cf4b819c5991fe208aaa96edf142730f1d)"
	.section	".note.GNU-stack","",@progbits
	.addrsig
	.addrsig_sym __hip_cuid_1fbfe2b4279d331c
	.amdgpu_metadata
---
amdhsa.kernels:
  - .args:
      - .actual_access:  read_only
        .address_space:  global
        .offset:         0
        .size:           8
        .value_kind:     global_buffer
      - .actual_access:  read_only
        .address_space:  global
        .offset:         8
        .size:           8
        .value_kind:     global_buffer
      - .actual_access:  read_only
        .address_space:  global
        .offset:         16
        .size:           8
        .value_kind:     global_buffer
      - .actual_access:  read_only
        .address_space:  global
        .offset:         24
        .size:           8
        .value_kind:     global_buffer
      - .actual_access:  read_only
        .address_space:  global
        .offset:         32
        .size:           8
        .value_kind:     global_buffer
      - .offset:         40
        .size:           8
        .value_kind:     by_value
      - .address_space:  global
        .offset:         48
        .size:           8
        .value_kind:     global_buffer
      - .address_space:  global
        .offset:         56
        .size:           8
        .value_kind:     global_buffer
      - .address_space:  global
        .offset:         64
        .size:           8
        .value_kind:     global_buffer
      - .address_space:  global
        .offset:         72
        .size:           8
        .value_kind:     global_buffer
      - .offset:         80
        .size:           4
        .value_kind:     by_value
      - .address_space:  global
        .offset:         88
        .size:           8
        .value_kind:     global_buffer
      - .address_space:  global
        .offset:         96
        .size:           8
        .value_kind:     global_buffer
    .group_segment_fixed_size: 6160
    .kernarg_segment_align: 8
    .kernarg_segment_size: 104
    .language:       OpenCL C
    .language_version:
      - 2
      - 0
    .max_flat_workgroup_size: 220
    .name:           bluestein_single_back_len770_dim1_half_op_CI_CI
    .private_segment_fixed_size: 0
    .sgpr_count:     29
    .sgpr_spill_count: 0
    .symbol:         bluestein_single_back_len770_dim1_half_op_CI_CI.kd
    .uniform_work_group_size: 1
    .uses_dynamic_stack: false
    .vgpr_count:     77
    .vgpr_spill_count: 0
    .wavefront_size: 64
amdhsa.target:   amdgcn-amd-amdhsa--gfx906
amdhsa.version:
  - 1
  - 2
...

	.end_amdgpu_metadata
